;; amdgpu-corpus repo=ROCm/aiter kind=harvested arch=n/a opt=n/a

/root/src/amdgpu-assembly/repos/ROCm__aiter/hsa/gfx950/pa/pa_bf16_pertokenFp8_gqa16_1tg_4w_mtp_msk1.co:	file format elf64-amdgpu

Disassembly of section .text:

0000000000002200 <_ZN5aiter41pa_bf16_pertokenFp8_gqa16_1tg_4w_mtp_msk1E>:
	s_and_b32 s1, s1, 0xffff                                   // 000000002200: 8601FF01 0000FFFF
	s_load_dwordx2 s[8:9], s[0:1], 0x0                         // 000000002208: C0060200 00000000
	s_load_dwordx2 s[12:13], s[0:1], 0x10                      // 000000002210: C0060300 00000010
	s_load_dwordx2 s[16:17], s[0:1], 0x20                      // 000000002218: C0060400 00000020
	s_load_dwordx2 s[20:21], s[0:1], 0x30                      // 000000002220: C0060500 00000030
	s_load_dwordx2 s[24:25], s[0:1], 0x40                      // 000000002228: C0060600 00000040
	s_load_dwordx2 s[28:29], s[0:1], 0x50                      // 000000002230: C0060700 00000050
	s_load_dwordx2 s[32:33], s[0:1], 0x60                      // 000000002238: C0060800 00000060
	s_load_dwordx2 s[36:37], s[0:1], 0x70                      // 000000002240: C0060900 00000070
	s_load_dword s64, s[0:1], 0x80                             // 000000002248: C0021000 00000080
	s_load_dword s65, s[0:1], 0x90                             // 000000002250: C0021040 00000090
	s_load_dword s66, s[0:1], 0xa0                             // 000000002258: C0021080 000000A0
	s_load_dword s74, s[0:1], 0xb0                             // 000000002260: C0021280 000000B0
	s_load_dword s68, s[0:1], 0xc0                             // 000000002268: C0021100 000000C0
	s_load_dword s69, s[0:1], 0xd0                             // 000000002270: C0021140 000000D0
	s_load_dword s77, s[0:1], 0xe0                             // 000000002278: C0021340 000000E0
	s_load_dwordx2 s[80:81], s[0:1], 0xf0                      // 000000002280: C0061400 000000F0
	v_lshrrev_b32_e32 v1, 10, v0                               // 000000002288: 2002008A
	v_lshrrev_b32_e32 v2, 10, v1                               // 00000000228C: 2004028A
	v_and_b32_e32 v2, 0x3ff, v2                                // 000000002290: 260404FF 000003FF
	v_and_b32_e32 v1, 0x3ff, v1                                // 000000002298: 260202FF 000003FF
	v_and_b32_e32 v0, 0x3ff, v0                                // 0000000022A0: 260000FF 000003FF
	v_lshrrev_b32_e32 v3, 6, v0                                // 0000000022A8: 20060086
	v_and_b32_e32 v0, 63, v0                                   // 0000000022AC: 260000BF
	s_mov_b32 s2, s2                                           // 0000000022B0: BE820002
	s_mov_b32 s3, s3                                           // 0000000022B4: BE830003
	s_mov_b32 s4, s4                                           // 0000000022B8: BE840004
	v_readfirstlane_b32 s7, v3                                 // 0000000022BC: 7E0E0503
	s_waitcnt lgkmcnt(0)                                       // 0000000022C0: BF8CC07F
	s_mul_i32 s67, 0x100, s77                                  // 0000000022C4: 92434DFF 00000100
	s_mul_i32 s76, 0x100, s77                                  // 0000000022CC: 924C4DFF 00000100
	s_mul_i32 s75, s66, s76                                    // 0000000022D4: 924B4C42
	s_mul_i32 s60, s3, 4                                       // 0000000022D8: 923C8403
	s_and_b32 s29, s29, 0xffff                                 // 0000000022DC: 861DFF1D 0000FFFF
	s_add_u32 s28, s60, s28                                    // 0000000022E4: 801C1C3C
	s_addc_u32 s29, 0, s29                                     // 0000000022E8: 821D1D80
	s_load_dword s72, s[28:29], 0x0                            // 0000000022EC: C002120E 00000000
	s_mul_i32 s60, s3, 4                                       // 0000000022F4: 923C8403
	s_and_b32 s81, s81, 0xffff                                 // 0000000022F8: 8651FF51 0000FFFF
	s_add_u32 s80, s60, s80                                    // 000000002300: 8050503C
	s_addc_u32 s81, 0, s81                                     // 000000002304: 82515180
	s_load_dword s84, s[80:81], 0x0                            // 000000002308: C0021528 00000000
	s_load_dword s85, s[80:81], 0x4                            // 000000002310: C0021568 00000004
	s_mov_b32 s10, s76                                         // 000000002318: BE8A004C
	s_mov_b32 s14, s67                                         // 00000000231C: BE8E0043
	s_mul_i32 s60, 4, s65                                      // 000000002320: 923C4184
	s_mov_b32 s26, s60                                         // 000000002324: BE9A003C
	s_mov_b32 s34, 0x80000000                                  // 000000002328: BEA200FF 80000000
	s_mov_b32 s38, 0x80000000                                  // 000000002330: BEA600FF 80000000
	s_mov_b32 s18, 0x80000000                                  // 000000002338: BE9200FF 80000000
	s_mov_b32 s22, 0x80000000                                  // 000000002340: BE9600FF 80000000
	s_mov_b32 s11, 0x20000                                     // 000000002348: BE8B00FF 00020000
	s_mov_b32 s15, 0x20000                                     // 000000002350: BE8F00FF 00020000
	s_mov_b32 s19, 0x20000                                     // 000000002358: BE9300FF 00020000
	s_mov_b32 s23, 0x20000                                     // 000000002360: BE9700FF 00020000
	s_mov_b32 s27, 0x20000                                     // 000000002368: BE9B00FF 00020000
	s_mov_b32 s35, 0x20000                                     // 000000002370: BEA300FF 00020000
	s_mov_b32 s39, 0x20000                                     // 000000002378: BEA700FF 00020000
	s_and_b32 s9, s9, 0xffff                                   // 000000002380: 8609FF09 0000FFFF
	s_and_b32 s13, s13, 0xffff                                 // 000000002388: 860DFF0D 0000FFFF
	s_and_b32 s17, s17, 0xffff                                 // 000000002390: 8611FF11 0000FFFF
	s_and_b32 s21, s21, 0xffff                                 // 000000002398: 8615FF15 0000FFFF
	s_and_b32 s25, s25, 0xffff                                 // 0000000023A0: 8619FF19 0000FFFF
	s_and_b32 s33, s33, 0xffff                                 // 0000000023A8: 8621FF21 0000FFFF
	s_and_b32 s37, s37, 0xffff                                 // 0000000023B0: 8625FF25 0000FFFF
	s_or_b32 s9, s9, 0x40000                                   // 0000000023B8: 8709FF09 00040000
	s_or_b32 s13, s13, 0x40000                                 // 0000000023C0: 870DFF0D 00040000
	s_or_b32 s17, s17, 0x40000                                 // 0000000023C8: 8711FF11 00040000
	s_or_b32 s21, s21, 0x40000                                 // 0000000023D0: 8715FF15 00040000
	s_or_b32 s25, s25, 0x40000                                 // 0000000023D8: 8719FF19 00040000
	s_or_b32 s33, s33, 0x40000                                 // 0000000023E0: 8721FF21 00040000
	s_or_b32 s37, s37, 0x40000                                 // 0000000023E8: 8725FF25 00040000
	v_accvgpr_write_b32 a127, 0                                // 0000000023F0: D3D9407F 18000080
	v_mov_b32_e32 v255, 0                                      // 0000000023F8: 7FFE0280
	s_waitcnt lgkmcnt(0)                                       // 0000000023FC: BF8CC07F
	s_sub_u32 s86, s85, s84                                    // 000000002400: 80D65455
	s_mov_b32 s60, 2                                           // 000000002404: BEBC0082
	s_cmp_eq_i32 s60, s86                                      // 000000002408: BF00563C
	s_cbranch_scc1 label_13C1                                  // 00000000240C: BF85133D
	s_mov_b32 s60, 3                                           // 000000002410: BEBC0083
	s_cmp_eq_i32 s60, s86                                      // 000000002414: BF00563C
	s_cbranch_scc1 label_378B                                  // 000000002418: BF853704
	s_mov_b32 s60, 4                                           // 00000000241C: BEBC0084
	s_cmp_eq_i32 s60, s86                                      // 000000002420: BF00563C
	s_cbranch_scc1 label_6C11                                  // 000000002424: BF856B87
	s_mul_i32 s60, s3, s65                                     // 000000002428: 923C4103
	s_mul_i32 s60, s60, 4                                      // 00000000242C: 923C843C
	s_add_u32 s24, s60, s24                                    // 000000002430: 8018183C
	s_addc_u32 s25, 0, s25                                     // 000000002434: 82191980
	s_mov_b32 s56, 64                                          // 000000002438: BEB800C0
	s_add_u32 s73, s72, 15                                     // 00000000243C: 80498F48
	s_lshr_b32 s73, s73, 4                                     // 000000002440: 8F498449
	s_mul_i32 s60, s73, 4                                      // 000000002444: 923C8449
	s_mov_b32 s26, s60                                         // 000000002448: BE9A003C
	v_and_b32_e32 v65, 3, v0                                   // 00000000244C: 26820083
	v_cmp_eq_u32_e64 s[60:61], 0, v65                          // 000000002450: D0CA003C 00028280
	v_and_b32_e32 v64, 12, v0                                  // 000000002458: 2680008C
	v_add_u32_e32 v1, s7, v64                                  // 00000000245C: 68028007
	v_cndmask_b32_e64 v1, 0, v1, s[60:61]                      // 000000002460: D1000001 00F20280
	v_and_b32_e32 v65, 3, v0                                   // 000000002468: 26820083
	v_cmp_eq_u32_e64 s[60:61], 1, v65                          // 00000000246C: D0CA003C 00028281
	v_lshrrev_b32_e32 v64, 4, v0                               // 000000002474: 20800084
	v_and_b32_e32 v65, 12, v0                                  // 000000002478: 2682008C
	v_add_u32_e32 v64, v65, v64                                // 00000000247C: 68808141
	v_cndmask_b32_e64 v64, 0, v64, s[60:61]                    // 000000002480: D1000040 00F28080
	v_add_u32_e32 v1, v1, v64                                  // 000000002488: 68028101
	v_lshlrev_b32_e32 v1, 2, v1                                // 00000000248C: 24020282
	buffer_load_dword v16, v1, s[24:27], 0 offen               // 000000002490: E0501000 80061001
	v_add_u32_e32 v1, s56, v1                                  // 000000002498: 68020238
	buffer_load_dword v17, v1, s[24:27], 0 offen               // 00000000249C: E0501000 80061101
	s_cmp_le_u32 s73, 32                                       // 0000000024A4: BF0BA049
	s_cselect_b32 s56, 0, s56                                  // 0000000024A8: 85383880
	s_mul_i32 s60, s2, s67                                     // 0000000024AC: 923C4302
	s_mul_i32 s61, s84, s74                                    // 0000000024B0: 923D4A54
	s_add_u32 s60, s60, s61                                    // 0000000024B4: 803C3D3C
	s_add_u32 s12, s60, s12                                    // 0000000024B8: 800C0C3C
	s_addc_u32 s13, 0, s13                                     // 0000000024BC: 820D0D80
	s_mul_i32 s60, s7, 0x108                                   // 0000000024C0: 923CFF07 00000108
	s_add_u32 m0, 0, s60                                       // 0000000024C8: 807C3C80
	s_mul_i32 s60, s7, 0x100                                   // 0000000024CC: 923CFF07 00000100
	v_lshlrev_b32_e32 v64, 2, v0                               // 0000000024D4: 24800082
	v_add_u32_e64 v64, v64, s60                                // 0000000024D8: D1340040 00007940
	buffer_load_dword v64, s[12:15], 0 offen lds               // 0000000024E0: E0511000 80030040
	s_mul_i32 s60, 4, 0x108                                    // 0000000024E8: 923CFF84 00000108
	s_add_u32 m0, m0, s60                                      // 0000000024F0: 807C3C7C
	v_add_u32_e32 v64, 0x400, v64                              // 0000000024F4: 688080FF 00000400
	buffer_load_dword v64, s[12:15], 0 offen lds               // 0000000024FC: E0511000 80030040
	s_mul_i32 s60, 4, 0x108                                    // 000000002504: 923CFF84 00000108
	s_add_u32 m0, m0, s60                                      // 00000000250C: 807C3C7C
	v_add_u32_e32 v64, 0x400, v64                              // 000000002510: 688080FF 00000400
	buffer_load_dword v64, s[12:15], 0 offen lds               // 000000002518: E0511000 80030040
	s_mul_i32 s60, 4, 0x108                                    // 000000002520: 923CFF84 00000108
	s_add_u32 m0, m0, s60                                      // 000000002528: 807C3C7C
	v_add_u32_e32 v64, 0x400, v64                              // 00000000252C: 688080FF 00000400
	buffer_load_dword v64, s[12:15], 0 offen lds               // 000000002534: E0511000 80030040
	s_mul_i32 s60, 4, 0x108                                    // 00000000253C: 923CFF84 00000108
	s_add_u32 m0, m0, s60                                      // 000000002544: 807C3C7C
	v_add_u32_e32 v64, 0x400, v64                              // 000000002548: 688080FF 00000400
	v_lshrrev_b32_e32 v64, 4, v0                               // 000000002550: 20800084
	v_lshlrev_b32_e32 v64, 2, v64                              // 000000002554: 24808082
	v_and_b32_e32 v65, 3, v0                                   // 000000002558: 26820083
	v_add_u32_e32 v64, v65, v64                                // 00000000255C: 68808141
	v_lshlrev_b32_e32 v59, 2, v64                              // 000000002560: 24768082
	v_mov_b32_e32 v60, v59                                     // 000000002564: 7E78033B
	s_mul_i32 s60, s2, 64                                      // 000000002568: 923CC002
	s_add_u32 s32, s60, s32                                    // 00000000256C: 8020203C
	s_addc_u32 s33, 0, s33                                     // 000000002570: 82212180
	s_add_u32 s36, s60, s36                                    // 000000002574: 8024243C
	s_addc_u32 s37, 0, s37                                     // 000000002578: 82252580
	s_mul_i32 s60, s2, s76                                     // 00000000257C: 923C4C02
	s_mul_i32 s61, s84, s75                                    // 000000002580: 923D4B54
	s_add_u32 s60, s60, s61                                    // 000000002584: 803C3D3C
	s_add_u32 s8, s60, s8                                      // 000000002588: 8008083C
	s_addc_u32 s9, 0, s9                                       // 00000000258C: 82090980
	s_mov_b32 s70, 0                                           // 000000002590: BEC60080
	s_and_b32 s71, s72, 0xffffff00                             // 000000002594: 8647FF48 FFFFFF00
	s_mov_b32 s42, 0xff00ff00                                  // 00000000259C: BEAA00FF FF00FF00
	s_mov_b32 s43, 0xff00ff00                                  // 0000000025A4: BEAB00FF FF00FF00
	s_mov_b32 s44, 0xf0f0f0f0                                  // 0000000025AC: BEAC00FF F0F0F0F0
	s_mov_b32 s45, 0xf0f0f0f0                                  // 0000000025B4: BEAD00FF F0F0F0F0
	s_mov_b32 s78, 0xff00ff                                    // 0000000025BC: BECE00FF 00FF00FF
	s_mov_b32 s79, 0xff00ff                                    // 0000000025C4: BECF00FF 00FF00FF
	v_mul_i32_i24_e64 v63, 64, s66                             // 0000000025CC: D106003F 000084C0
	v_mov_b32_e32 v54, s68                                     // 0000000025D4: 7E6C0244
	s_mov_b32 s52, 0x7060302                                   // 0000000025D8: BEB400FF 07060302
	s_mov_b32 s53, 0x400                                       // 0000000025E0: BEB500FF 00000400
	s_mov_b32 s54, 0x40100                                     // 0000000025E8: BEB600FF 00040100
	s_mov_b32 s55, 0x4020100                                   // 0000000025F0: BEB700FF 04020100
	s_mov_b32 s6, 0x3fb8aa3b                                   // 0000000025F8: BE8600FF 3FB8AA3B
	v_mov_b32_e32 v11, 0xff800000                              // 000000002600: 7E1602FF FF800000
	v_mov_b32_e32 v49, 0                                       // 000000002608: 7E620280
	v_mov_b32_e32 v38, 0                                       // 00000000260C: 7E4C0280
	v_mov_b32_e32 v44, 0                                       // 000000002610: 7E580280
	v_add_u32_e32 v1, s56, v1                                  // 000000002614: 68020238
	v_and_b32_e32 v7, 15, v0                                   // 000000002618: 260E008F
	v_lshlrev_b32_e32 v7, 2, v7                                // 00000000261C: 240E0E82
	v_lshlrev_b32_e32 v8, 2, v0                                // 000000002620: 24100082
	s_mul_i32 s60, 0x100, s7                                   // 000000002624: 923C07FF 00000100
	v_add_u32_e32 v8, s60, v8                                  // 00000000262C: 6810103C
	v_lshrrev_b32_e32 v64, 4, v0                               // 000000002630: 20800084
	v_lshlrev_b32_e32 v65, 6, v64                              // 000000002634: 24828086
	v_and_b32_e32 v64, 15, v0                                  // 000000002638: 2680008F
	v_lshlrev_b32_e32 v64, 1, v64                              // 00000000263C: 24808081
	v_add_u32_e32 v65, v64, v65                                // 000000002640: 68828340
	v_lshlrev_b32_e32 v9, 2, v65                               // 000000002644: 24128282
	v_lshrrev_b32_e32 v64, 5, v0                               // 000000002648: 20800085
	v_lshlrev_b32_e32 v65, 5, v64                              // 00000000264C: 24828085
	v_and_b32_e32 v64, 31, v0                                  // 000000002650: 2680009F
	v_lshrrev_b32_e32 v66, 4, v64                              // 000000002654: 20848084
	v_add_u32_e32 v65, v66, v65                                // 000000002658: 68828342
	v_and_b32_e32 v64, 15, v0                                  // 00000000265C: 2680008F
	v_lshlrev_b32_e32 v64, 1, v64                              // 000000002660: 24808081
	v_add_u32_e32 v65, v64, v65                                // 000000002664: 68828340
	v_lshlrev_b32_e32 v64, 2, v65                              // 000000002668: 24808282
	s_mul_i32 s60, 0x100, s7                                   // 00000000266C: 923C07FF 00000100
	v_add_u32_e64 v10, v64, s60                                // 000000002674: D134000A 00007940
	v_lshlrev_b32_e32 v5, 4, v0                                // 00000000267C: 240A0084
	s_mul_i32 s60, s2, s69                                     // 000000002680: 923C4502
	s_add_u32 s16, s60, s16                                    // 000000002684: 8010103C
	s_addc_u32 s17, 0, s17                                     // 000000002688: 82111180
	v_and_b32_e32 v64, 15, v0                                  // 00000000268C: 2680008F
	v_lshlrev_b32_e32 v6, 4, v64                               // 000000002690: 240C8084
	s_mul_i32 s61, s2, s69                                     // 000000002694: 923D4502
	s_mul_i32 s60, s7, 0x100                                   // 000000002698: 923CFF07 00000100
	s_add_u32 s60, s60, s61                                    // 0000000026A0: 803C3D3C
	s_add_u32 s20, s60, s20                                    // 0000000026A4: 8014143C
	s_addc_u32 s21, 0, s21                                     // 0000000026A8: 82151580
	s_waitcnt vmcnt(4)                                         // 0000000026AC: BF8C0F74
	v_mul_u32_u24_dpp v64, v16, v54 row_newbcast:0 row_mask:0xf bank_mask:0xf// 0000000026B0: 10806CFA FF015010
	v_mul_u32_u24_dpp v65, v16, v54 row_newbcast:4 row_mask:0xf bank_mask:0xf// 0000000026B8: 10826CFA FF015410
	v_mul_u32_u24_dpp v66, v16, v54 row_newbcast:8 row_mask:0xf bank_mask:0xf// 0000000026C0: 10846CFA FF015810
	v_mul_u32_u24_dpp v67, v16, v54 row_newbcast:12 row_mask:0xf bank_mask:0xf// 0000000026C8: 10866CFA FF015C10
	v_add_u32_e32 v22, v64, v5                                 // 0000000026D0: 682C0B40
	v_add_u32_e32 v23, v65, v5                                 // 0000000026D4: 682E0B41
	v_add_u32_e32 v24, v66, v5                                 // 0000000026D8: 68300B42
	v_add_u32_e32 v25, v67, v5                                 // 0000000026DC: 68320B43
	v_mul_u32_u24_dpp v64, v16, v54 row_newbcast:1 row_mask:0xf bank_mask:0xf// 0000000026E0: 10806CFA FF015110
	v_mul_u32_u24_dpp v65, v16, v54 row_newbcast:5 row_mask:0xf bank_mask:0xf// 0000000026E8: 10826CFA FF015510
	v_mul_u32_u24_dpp v66, v16, v54 row_newbcast:9 row_mask:0xf bank_mask:0xf// 0000000026F0: 10846CFA FF015910
	v_mul_u32_u24_dpp v67, v16, v54 row_newbcast:13 row_mask:0xf bank_mask:0xf// 0000000026F8: 10866CFA FF015D10
	v_add_u32_e32 v30, v64, v6                                 // 000000002700: 683C0D40
	v_add_u32_e32 v31, v65, v6                                 // 000000002704: 683E0D41
	v_add_u32_e32 v32, v66, v6                                 // 000000002708: 68400D42
	v_add_u32_e32 v33, v67, v6                                 // 00000000270C: 68420D43
	v_mul_u32_u24_dpp v64, v16, v63 quad_perm:[0,0,0,0] row_mask:0xf bank_mask:0xf// 000000002710: 10807EFA FF000010
	v_add_u32_e32 v2, v64, v59                                 // 000000002718: 68047740
	v_mul_u32_u24_dpp v64, v16, v63 quad_perm:[0,0,0,0] row_mask:0xf bank_mask:0xf// 00000000271C: 10807EFA FF000010
	v_add_u32_e32 v55, v64, v60                                // 000000002724: 686E7940
	buffer_load_dword v42, v2, s[32:35], 0 offen               // 000000002728: E0501000 80082A02
	buffer_load_dwordx4 a[0:3], v22, s[16:19], 0 offen         // 000000002730: E05C1000 80840016
	buffer_load_dwordx4 a[4:7], v22, s[16:19], 0 offen offset:1024// 000000002738: E05C1400 80840416
	buffer_load_dwordx4 a[8:11], v23, s[16:19], 0 offen        // 000000002740: E05C1000 80840817
	buffer_load_dwordx4 a[12:15], v23, s[16:19], 0 offen offset:1024// 000000002748: E05C1400 80840C17
	buffer_load_dwordx4 a[16:19], v24, s[16:19], 0 offen       // 000000002750: E05C1000 80841018
	buffer_load_dwordx4 a[20:23], v24, s[16:19], 0 offen offset:1024// 000000002758: E05C1400 80841418
	buffer_load_dwordx4 a[24:27], v25, s[16:19], 0 offen       // 000000002760: E05C1000 80841819
	buffer_load_dwordx4 a[28:31], v25, s[16:19], 0 offen offset:1024// 000000002768: E05C1400 80841C19
	buffer_load_dword v57, v55, s[36:39], 0 offen              // 000000002770: E0501000 80093937
	buffer_load_dwordx4 a[64:67], v30, s[20:23], 0 offen       // 000000002778: E05C1000 8085401E
	buffer_load_dwordx4 a[68:71], v31, s[20:23], 0 offen       // 000000002780: E05C1000 8085441F
	buffer_load_dwordx4 a[72:75], v32, s[20:23], 0 offen       // 000000002788: E05C1000 80854820
	buffer_load_dwordx4 a[76:79], v33, s[20:23], 0 offen       // 000000002790: E05C1000 80854C21
	buffer_load_dwordx4 a[80:83], v30, s[20:23], 0 offen offset:1024// 000000002798: E05C1400 8085501E
	buffer_load_dwordx4 a[84:87], v31, s[20:23], 0 offen offset:1024// 0000000027A0: E05C1400 8085541F
	buffer_load_dwordx4 a[88:91], v32, s[20:23], 0 offen offset:1024// 0000000027A8: E05C1400 80855820
	buffer_load_dwordx4 a[92:95], v33, s[20:23], 0 offen offset:1024// 0000000027B0: E05C1400 80855C21
	v_lshrrev_b32_e32 v64, 4, v0                               // 0000000027B8: 20800084
	v_lshlrev_b32_e32 v65, 1, v64                              // 0000000027BC: 24828081
	v_and_b32_e32 v64, 15, v0                                  // 0000000027C0: 2680008F
	v_mul_i32_i24_e32 v64, 0x42, v64                           // 0000000027C4: 0C8080FF 00000042
	v_add_u32_e32 v65, v64, v65                                // 0000000027CC: 68828340
	v_lshlrev_b32_e32 v4, 2, v65                               // 0000000027D0: 24088282
	s_mul_i32 s60, s7, 32                                      // 0000000027D4: 923CA007
	v_add_u32_e32 v4, s60, v4                                  // 0000000027D8: 6808083C
	s_waitcnt vmcnt(16) lgkmcnt(0)                             // 0000000027DC: BF8C4070
	s_barrier                                                  // 0000000027E0: BF8A0000
	ds_read_b64 v[80:81], v4                                   // 0000000027E4: D8EC0000 50000004
	ds_read_b64 v[84:85], v4 offset:128                        // 0000000027EC: D8EC0080 54000004
	s_waitcnt lgkmcnt(0)                                       // 0000000027F4: BF8CC07F
	v_and_b32_e32 v83, 0xffff0000, v81                         // 0000000027F8: 26A6A2FF FFFF0000
	v_lshlrev_b32_e32 v82, 16, v81                             // 000000002800: 24A4A290
	v_and_b32_e32 v81, 0xffff0000, v80                         // 000000002804: 26A2A0FF FFFF0000
	v_lshlrev_b32_e32 v80, 16, v80                             // 00000000280C: 24A0A090
	v_and_b32_e32 v87, 0xffff0000, v85                         // 000000002810: 26AEAAFF FFFF0000
	v_lshlrev_b32_e32 v86, 16, v85                             // 000000002818: 24ACAA90
	v_and_b32_e32 v85, 0xffff0000, v84                         // 00000000281C: 26AAA8FF FFFF0000
	v_lshlrev_b32_e32 v84, 16, v84                             // 000000002824: 24A8A890
	v_mov_b32_e32 v48, 0x358637bd                              // 000000002828: 7E6002FF 358637BD
	v_max3_f32 v48, |v80|, |v81|, v48                          // 000000002830: D1D30330 04C2A350
	v_max3_f32 v48, |v82|, |v83|, v48                          // 000000002838: D1D30330 04C2A752
	v_max3_f32 v48, |v84|, |v85|, v48                          // 000000002840: D1D30330 04C2AB54
	v_max3_f32 v48, |v86|, |v87|, v48                          // 000000002848: D1D30330 04C2AF56
	ds_write_b32 v8, v48 offset:16896                          // 000000002850: D81A4200 00003008
	s_waitcnt lgkmcnt(0)                                       // 000000002858: BF8CC07F
	s_barrier                                                  // 00000000285C: BF8A0000
	ds_read_b32 v64, v7 offset:16896                           // 000000002860: D86C4200 40000007
	ds_read_b32 v65, v7 offset:16960                           // 000000002868: D86C4240 41000007
	ds_read_b32 v66, v7 offset:17024                           // 000000002870: D86C4280 42000007
	ds_read_b32 v67, v7 offset:17088                           // 000000002878: D86C42C0 43000007
	ds_read_b32 v68, v7 offset:17152                           // 000000002880: D86C4300 44000007
	ds_read_b32 v69, v7 offset:17216                           // 000000002888: D86C4340 45000007
	ds_read_b32 v70, v7 offset:17280                           // 000000002890: D86C4380 46000007
	ds_read_b32 v71, v7 offset:17344                           // 000000002898: D86C43C0 47000007
	ds_read_b32 v72, v7 offset:17408                           // 0000000028A0: D86C4400 48000007
	ds_read_b32 v73, v7 offset:17472                           // 0000000028A8: D86C4440 49000007
	ds_read_b32 v74, v7 offset:17536                           // 0000000028B0: D86C4480 4A000007
	ds_read_b32 v75, v7 offset:17600                           // 0000000028B8: D86C44C0 4B000007
	ds_read_b32 v76, v7 offset:17664                           // 0000000028C0: D86C4500 4C000007
	ds_read_b32 v77, v7 offset:17728                           // 0000000028C8: D86C4540 4D000007
	ds_read_b32 v78, v7 offset:17792                           // 0000000028D0: D86C4580 4E000007
	ds_read_b32 v79, v7 offset:17856                           // 0000000028D8: D86C45C0 4F000007
	s_waitcnt lgkmcnt(0)                                       // 0000000028E0: BF8CC07F
	v_max3_f32 v48, |v64|, |v65|, v48                          // 0000000028E4: D1D30330 04C28340
	v_max3_f32 v48, |v66|, |v67|, v48                          // 0000000028EC: D1D30330 04C28742
	v_max3_f32 v48, |v68|, |v69|, v48                          // 0000000028F4: D1D30330 04C28B44
	v_max3_f32 v48, |v70|, |v71|, v48                          // 0000000028FC: D1D30330 04C28F46
	v_max3_f32 v48, |v72|, |v73|, v48                          // 000000002904: D1D30330 04C29348
	v_max3_f32 v48, |v74|, |v75|, v48                          // 00000000290C: D1D30330 04C2974A
	v_max3_f32 v48, |v76|, |v77|, v48                          // 000000002914: D1D30330 04C29B4C
	v_max3_f32 v48, |v78|, |v79|, v48                          // 00000000291C: D1D30330 04C29F4E
	v_rcp_f32_e32 v48, v48                                     // 000000002924: 7E604530
	s_nop 1                                                    // 000000002928: BF800001
	v_mul_f32_e32 v48, 0x43e00000, v48                         // 00000000292C: 0A6060FF 43E00000
	v_mul_f32_e32 v80, v48, v80                                // 000000002934: 0AA0A130
	v_mul_f32_e32 v81, v48, v81                                // 000000002938: 0AA2A330
	v_mul_f32_e32 v82, v48, v82                                // 00000000293C: 0AA4A530
	v_mul_f32_e32 v83, v48, v83                                // 000000002940: 0AA6A730
	v_mul_f32_e32 v84, v48, v84                                // 000000002944: 0AA8A930
	v_mul_f32_e32 v85, v48, v85                                // 000000002948: 0AAAAB30
	v_mul_f32_e32 v86, v48, v86                                // 00000000294C: 0AACAD30
	v_mul_f32_e32 v87, v48, v87                                // 000000002950: 0AAEAF30
	v_rcp_f32_e32 v18, v48                                     // 000000002954: 7E244530
	v_cvt_pk_fp8_f32 v80, v80, v81                             // 000000002958: D2A20050 0002A350
	v_cvt_pk_fp8_f32 v80, v82, v83 op_sel:[0,0,1]              // 000000002960: D2A24050 0002A752
	v_cvt_pk_fp8_f32 v81, v84, v85                             // 000000002968: D2A20051 0002AB54
	v_cvt_pk_fp8_f32 v81, v86, v87 op_sel:[0,0,1]              // 000000002970: D2A24051 0002AF56
	ds_write_b32 v10, v80 offset:25088                         // 000000002978: D81A6200 0000500A
	ds_write_b32 v10, v81 offset:26112                         // 000000002980: D81A6600 0000510A
	s_waitcnt lgkmcnt(0)                                       // 000000002988: BF8CC07F
	s_barrier                                                  // 00000000298C: BF8A0000
	ds_read_b64 v[80:81], v9 offset:25088                      // 000000002990: D8EC6200 50000009
	ds_read_b64 v[82:83], v9 offset:25216                      // 000000002998: D8EC6280 52000009
	ds_read_b64 v[84:85], v9 offset:26112                      // 0000000029A0: D8EC6600 54000009
	ds_read_b64 v[86:87], v9 offset:26240                      // 0000000029A8: D8EC6680 56000009
	v_mov_b32_e32 v208, 0                                      // 0000000029B0: 7FA00280
	v_mov_b32_e32 v209, 0                                      // 0000000029B4: 7FA20280
	v_mov_b32_e32 v210, 0                                      // 0000000029B8: 7FA40280
	v_mov_b32_e32 v211, 0                                      // 0000000029BC: 7FA60280
	v_mov_b32_e32 v212, 0                                      // 0000000029C0: 7FA80280
	v_mov_b32_e32 v213, 0                                      // 0000000029C4: 7FAA0280
	v_mov_b32_e32 v214, 0                                      // 0000000029C8: 7FAC0280
	v_mov_b32_e32 v215, 0                                      // 0000000029CC: 7FAE0280
	v_mov_b32_e32 v176, 0                                      // 0000000029D0: 7F600280
	v_mov_b32_e32 v177, 0                                      // 0000000029D4: 7F620280
	v_mov_b32_e32 v178, 0                                      // 0000000029D8: 7F640280
	v_mov_b32_e32 v179, 0                                      // 0000000029DC: 7F660280
	v_mov_b32_e32 v180, 0                                      // 0000000029E0: 7F680280
	v_mov_b32_e32 v181, 0                                      // 0000000029E4: 7F6A0280
	v_mov_b32_e32 v182, 0                                      // 0000000029E8: 7F6C0280
	v_mov_b32_e32 v183, 0                                      // 0000000029EC: 7F6E0280
	s_waitcnt vmcnt(8) lgkmcnt(0)                              // 0000000029F0: BF8C0078
	s_barrier                                                  // 0000000029F4: BF8A0000
	s_cmp_lt_u32 s73, 16                                       // 0000000029F8: BF0A9049
	s_cbranch_scc1 label_0D0F                                  // 0000000029FC: BF850B0F
	s_cmp_lt_i32 s7, 2                                         // 000000002A00: BF048207
	s_cbranch_scc0 label_078A                                  // 000000002A04: BF840588

0000000000002a08 <label_0202>:
	s_waitcnt vmcnt(8) lgkmcnt(0)                              // 000000002A08: BF8C0078
	v_mul_u32_u24_dpp v64, v17, v54 row_newbcast:0 row_mask:0xf bank_mask:0xf// 000000002A0C: 10806CFA FF015011
	v_mul_u32_u24_dpp v65, v17, v54 row_newbcast:4 row_mask:0xf bank_mask:0xf// 000000002A14: 10826CFA FF015411
	v_mul_u32_u24_dpp v66, v17, v54 row_newbcast:8 row_mask:0xf bank_mask:0xf// 000000002A1C: 10846CFA FF015811
	v_mul_u32_u24_dpp v67, v17, v54 row_newbcast:12 row_mask:0xf bank_mask:0xf// 000000002A24: 10866CFA FF015C11
	v_add_u32_e32 v26, v64, v5                                 // 000000002A2C: 68340B40
	v_add_u32_e32 v27, v65, v5                                 // 000000002A30: 68360B41
	v_add_u32_e32 v28, v66, v5                                 // 000000002A34: 68380B42
	v_add_u32_e32 v29, v67, v5                                 // 000000002A38: 683A0B43
	v_mul_u32_u24_dpp v64, v17, v63 quad_perm:[0,0,0,0] row_mask:0xf bank_mask:0xf// 000000002A3C: 10807EFA FF000011
	v_add_u32_e32 v3, v64, v59                                 // 000000002A44: 68067740
	v_mul_u32_u24_dpp v64, v17, v63 quad_perm:[0,0,0,0] row_mask:0xf bank_mask:0xf// 000000002A48: 10807EFA FF000011
	v_add_u32_e32 v56, v64, v60                                // 000000002A50: 68707940
	v_mfma_f32_16x16x32_fp8_fp8 v[112:115], a[0:1], v[80:81], 0// 000000002A54: D3F30070 0A02A100
	v_mfma_f32_16x16x32_fp8_fp8 v[112:115], a[2:3], v[82:83], v[112:115]// 000000002A5C: D3F30070 0DC2A502
	buffer_load_dwordx4 a[32:35], v26, s[16:19], 0 offen       // 000000002A64: E05C1000 8084201A
	v_mfma_f32_16x16x32_fp8_fp8 v[112:115], a[4:5], v[84:85], v[112:115]// 000000002A6C: D3F30070 0DC2A904
	v_mfma_f32_16x16x32_fp8_fp8 v[112:115], a[6:7], v[86:87], v[112:115]// 000000002A74: D3F30070 0DC2AD06
	buffer_load_dword v16, v1, s[24:27], 0 offen               // 000000002A7C: E0501000 80061001
	v_mfma_f32_16x16x32_fp8_fp8 v[116:119], a[8:9], v[80:81], 0// 000000002A84: D3F30074 0A02A108
	v_mfma_f32_16x16x32_fp8_fp8 v[116:119], a[10:11], v[82:83], v[116:119]// 000000002A8C: D3F30074 0DD2A50A
	buffer_load_dwordx4 a[36:39], v26, s[16:19], 0 offen offset:1024// 000000002A94: E05C1400 8084241A
	v_mfma_f32_16x16x32_fp8_fp8 v[116:119], a[12:13], v[84:85], v[116:119]// 000000002A9C: D3F30074 0DD2A90C
	v_mfma_f32_16x16x32_fp8_fp8 v[116:119], a[14:15], v[86:87], v[116:119]// 000000002AA4: D3F30074 0DD2AD0E
	v_mfma_f32_16x16x32_fp8_fp8 v[120:123], a[16:17], v[80:81], 0// 000000002AAC: D3F30078 0A02A110
	v_mfma_f32_16x16x32_fp8_fp8 v[120:123], a[18:19], v[82:83], v[120:123]// 000000002AB4: D3F30078 0DE2A512
	buffer_load_dwordx4 a[40:43], v27, s[16:19], 0 offen       // 000000002ABC: E05C1000 8084281B
	v_mfma_f32_16x16x32_fp8_fp8 v[120:123], a[20:21], v[84:85], v[120:123]// 000000002AC4: D3F30078 0DE2A914
	v_mfma_f32_16x16x32_fp8_fp8 v[120:123], a[22:23], v[86:87], v[120:123]// 000000002ACC: D3F30078 0DE2AD16
	v_mfma_f32_16x16x32_fp8_fp8 v[124:127], a[24:25], v[80:81], 0// 000000002AD4: D3F3007C 0A02A118
	v_mfma_f32_16x16x32_fp8_fp8 v[124:127], a[26:27], v[82:83], v[124:127]// 000000002ADC: D3F3007C 0DF2A51A
	buffer_load_dwordx4 a[44:47], v27, s[16:19], 0 offen offset:1024// 000000002AE4: E05C1400 80842C1B
	v_mfma_f32_16x16x32_fp8_fp8 v[124:127], a[28:29], v[84:85], v[124:127]// 000000002AEC: D3F3007C 0DF2A91C
	v_mfma_f32_16x16x32_fp8_fp8 v[124:127], a[30:31], v[86:87], v[124:127]// 000000002AF4: D3F3007C 0DF2AD1E
	buffer_load_dword v43, v3, s[32:35], 0 offen               // 000000002AFC: E0501000 80082B03
	v_mov_b32_dpp v64, v42 row_shr:4 row_mask:0xf bank_mask:0xf// 000000002B04: 7E8002FA FF01142A
	v_mov_b32_dpp v65, v42 row_shl:4 row_mask:0xf bank_mask:0xf// 000000002B0C: 7E8202FA FF01042A
	v_cndmask_b32_e64 v248, v42, v64, s[44:45]                 // 000000002B14: D10000F8 00B2812A
	v_cndmask_b32_e64 v249, v65, v42, s[44:45]                 // 000000002B1C: D10000F9 00B25541
	v_mov_b32_dpp v64, v248 row_shr:8 row_mask:0xf bank_mask:0xf// 000000002B24: 7E8002FA FF0118F8
	v_mov_b32_dpp v65, v248 row_shl:8 row_mask:0xf bank_mask:0xf// 000000002B2C: 7E8202FA FF0108F8
	v_mov_b32_dpp v66, v249 row_shr:8 row_mask:0xf bank_mask:0xf// 000000002B34: 7E8402FA FF0118F9
	v_mov_b32_dpp v67, v249 row_shl:8 row_mask:0xf bank_mask:0xf// 000000002B3C: 7E8602FA FF0108F9
	v_mov_b32_e32 v68, v248                                    // 000000002B44: 7E8803F8
	v_mov_b32_e32 v69, v249                                    // 000000002B48: 7E8A03F9
	v_cndmask_b32_e64 v248, v68, v64, s[42:43]                 // 000000002B4C: D10000F8 00AA8144
	v_cndmask_b32_e64 v250, v68, v65, s[78:79]                 // 000000002B54: D10000FA 013A8344
	v_cndmask_b32_e64 v249, v69, v66, s[42:43]                 // 000000002B5C: D10000F9 00AA8545
	v_cndmask_b32_e64 v251, v69, v67, s[78:79]                 // 000000002B64: D10000FB 013A8745
	v_mov_b32_dpp v64, v57 row_shr:4 row_mask:0xf bank_mask:0xf// 000000002B6C: 7E8002FA FF011439
	v_mov_b32_dpp v65, v57 row_shl:4 row_mask:0xf bank_mask:0xf// 000000002B74: 7E8202FA FF010439
	v_cndmask_b32_e64 v252, v57, v64, s[44:45]                 // 000000002B7C: D10000FC 00B28139
	v_cndmask_b32_e64 v253, v65, v57, s[44:45]                 // 000000002B84: D10000FD 00B27341
	v_mov_b32_dpp v64, v252 row_shr:8 row_mask:0xf bank_mask:0xf// 000000002B8C: 7E8002FA FF0118FC
	v_mov_b32_dpp v65, v252 row_shl:8 row_mask:0xf bank_mask:0xf// 000000002B94: 7E8202FA FF0108FC
	v_mov_b32_dpp v66, v253 row_shr:8 row_mask:0xf bank_mask:0xf// 000000002B9C: 7E8402FA FF0118FD
	v_mov_b32_dpp v67, v253 row_shl:8 row_mask:0xf bank_mask:0xf// 000000002BA4: 7E8602FA FF0108FD
	v_mov_b32_e32 v68, v252                                    // 000000002BAC: 7E8803FC
	v_mov_b32_e32 v69, v253                                    // 000000002BB0: 7E8A03FD
	v_cndmask_b32_e64 v252, v68, v64, s[42:43]                 // 000000002BB4: D10000FC 00AA8144
	v_cndmask_b32_e64 v254, v68, v65, s[78:79]                 // 000000002BBC: D10000FE 013A8344
	v_cndmask_b32_e64 v253, v69, v66, s[42:43]                 // 000000002BC4: D10000FD 00AA8545
	v_cndmask_b32_e64 v255, v69, v67, s[78:79]                 // 000000002BCC: D10000FF 013A8745
	buffer_load_dword v58, v56, s[36:39], 0 offen              // 000000002BD4: E0501000 80093A38
	v_mul_f32_e32 v112, v18, v112                              // 000000002BDC: 0AE0E112
	v_mul_f32_e32 v113, v18, v113                              // 000000002BE0: 0AE2E312
	v_mul_f32_e32 v114, v18, v114                              // 000000002BE4: 0AE4E512
	v_mul_f32_e32 v115, v18, v115                              // 000000002BE8: 0AE6E712
	v_mul_f32_e32 v116, v18, v116                              // 000000002BEC: 0AE8E912
	v_mul_f32_e32 v117, v18, v117                              // 000000002BF0: 0AEAEB12
	v_mul_f32_e32 v118, v18, v118                              // 000000002BF4: 0AECED12
	v_mul_f32_e32 v119, v18, v119                              // 000000002BF8: 0AEEEF12
	v_mul_f32_e32 v120, v18, v120                              // 000000002BFC: 0AF0F112
	v_mul_f32_e32 v121, v18, v121                              // 000000002C00: 0AF2F312
	v_mul_f32_e32 v122, v18, v122                              // 000000002C04: 0AF4F512
	v_mul_f32_e32 v123, v18, v123                              // 000000002C08: 0AF6F712
	v_mul_f32_e32 v124, v18, v124                              // 000000002C0C: 0AF8F912
	v_mul_f32_e32 v125, v18, v125                              // 000000002C10: 0AFAFB12
	v_mul_f32_e32 v126, v18, v126                              // 000000002C14: 0AFCFD12
	v_mul_f32_e32 v127, v18, v127                              // 000000002C18: 0AFEFF12
	buffer_load_dwordx4 a[48:51], v28, s[16:19], 0 offen       // 000000002C1C: E05C1000 8084301C
	v_mul_f32_dpp v112, v248, v112 quad_perm:[0,0,0,0] row_mask:0xf bank_mask:0xf// 000000002C24: 0AE0E0FA FF0000F8
	v_mul_f32_dpp v113, v248, v113 quad_perm:[1,1,1,1] row_mask:0xf bank_mask:0xf// 000000002C2C: 0AE2E2FA FF0055F8
	v_mul_f32_dpp v114, v248, v114 quad_perm:[2,2,2,2] row_mask:0xf bank_mask:0xf// 000000002C34: 0AE4E4FA FF00AAF8
	v_mul_f32_dpp v115, v248, v115 quad_perm:[3,3,3,3] row_mask:0xf bank_mask:0xf// 000000002C3C: 0AE6E6FA FF00FFF8
	v_mul_f32_dpp v116, v249, v116 quad_perm:[0,0,0,0] row_mask:0xf bank_mask:0xf// 000000002C44: 0AE8E8FA FF0000F9
	v_mul_f32_dpp v117, v249, v117 quad_perm:[1,1,1,1] row_mask:0xf bank_mask:0xf// 000000002C4C: 0AEAEAFA FF0055F9
	v_mul_f32_dpp v118, v249, v118 quad_perm:[2,2,2,2] row_mask:0xf bank_mask:0xf// 000000002C54: 0AECECFA FF00AAF9
	v_mul_f32_dpp v119, v249, v119 quad_perm:[3,3,3,3] row_mask:0xf bank_mask:0xf// 000000002C5C: 0AEEEEFA FF00FFF9
	v_mul_f32_dpp v120, v250, v120 quad_perm:[0,0,0,0] row_mask:0xf bank_mask:0xf// 000000002C64: 0AF0F0FA FF0000FA
	v_mul_f32_dpp v121, v250, v121 quad_perm:[1,1,1,1] row_mask:0xf bank_mask:0xf// 000000002C6C: 0AF2F2FA FF0055FA
	v_mul_f32_dpp v122, v250, v122 quad_perm:[2,2,2,2] row_mask:0xf bank_mask:0xf// 000000002C74: 0AF4F4FA FF00AAFA
	v_mul_f32_dpp v123, v250, v123 quad_perm:[3,3,3,3] row_mask:0xf bank_mask:0xf// 000000002C7C: 0AF6F6FA FF00FFFA
	v_mul_f32_dpp v124, v251, v124 quad_perm:[0,0,0,0] row_mask:0xf bank_mask:0xf// 000000002C84: 0AF8F8FA FF0000FB
	v_mul_f32_dpp v125, v251, v125 quad_perm:[1,1,1,1] row_mask:0xf bank_mask:0xf// 000000002C8C: 0AFAFAFA FF0055FB
	v_mul_f32_dpp v126, v251, v126 quad_perm:[2,2,2,2] row_mask:0xf bank_mask:0xf// 000000002C94: 0AFCFCFA FF00AAFB
	v_mul_f32_dpp v127, v251, v127 quad_perm:[3,3,3,3] row_mask:0xf bank_mask:0xf// 000000002C9C: 0AFEFEFA FF00FFFB
	buffer_load_dwordx4 a[52:55], v28, s[16:19], 0 offen offset:1024// 000000002CA4: E05C1400 8084341C
	s_cmp_le_i32 s90, s89                                      // 000000002CAC: BF05595A
	s_cbranch_scc1 label_031E                                  // 000000002CB0: BF850071
	v_mov_b32_e32 v66, 0xff800000                              // 000000002CB4: 7E8402FF FF800000
	s_mov_b32 s60, s90                                         // 000000002CBC: BEBC005A
	s_add_u32 s61, s89, 0xff                                   // 000000002CC0: 803DFF59 000000FF
	v_mov_b32_e32 v64, s61                                     // 000000002CC8: 7E80023D
	v_lshrrev_b32_e32 v240, 4, v0                              // 000000002CCC: 21E00084
	v_mul_i32_i24_e32 v240, 4, v240                            // 000000002CD0: 0DE1E084
	v_add_u32_e32 v240, s60, v240                              // 000000002CD4: 69E1E03C
	s_mov_b32 s61, 0                                           // 000000002CD8: BEBD0080
	s_mul_i32 s60, 16, s7                                      // 000000002CDC: 923C0790
	v_sub_u32_e64 v240, v240, s61                              // 000000002CE0: D13500F0 00007BF0
	v_add_u32_e32 v240, s60, v240                              // 000000002CE8: 69E1E03C
	v_add_u32_e32 v241, 1, v240                                // 000000002CEC: 69E3E081
	v_add_u32_e32 v242, 2, v240                                // 000000002CF0: 69E5E082
	v_add_u32_e32 v243, 3, v240                                // 000000002CF4: 69E7E083
	v_cmp_le_u32_e64 s[40:41], v240, v64                       // 000000002CF8: D0CB0028 000281F0
	v_add_u32_e32 v240, 64, v240                               // 000000002D00: 69E1E0C0
	s_nop 0                                                    // 000000002D04: BF800000
	v_cndmask_b32_e64 v112, v66, v112, s[40:41]                // 000000002D08: D1000070 00A2E142
	v_cmp_le_u32_e64 s[40:41], v241, v64                       // 000000002D10: D0CB0028 000281F1
	v_add_u32_e32 v241, 64, v241                               // 000000002D18: 69E3E2C0
	s_nop 0                                                    // 000000002D1C: BF800000
	v_cndmask_b32_e64 v113, v66, v113, s[40:41]                // 000000002D20: D1000071 00A2E342
	v_cmp_le_u32_e64 s[40:41], v242, v64                       // 000000002D28: D0CB0028 000281F2
	v_add_u32_e32 v242, 64, v242                               // 000000002D30: 69E5E4C0
	s_nop 0                                                    // 000000002D34: BF800000
	v_cndmask_b32_e64 v114, v66, v114, s[40:41]                // 000000002D38: D1000072 00A2E542
	v_cmp_le_u32_e64 s[40:41], v243, v64                       // 000000002D40: D0CB0028 000281F3
	v_add_u32_e32 v243, 64, v243                               // 000000002D48: 69E7E6C0
	s_nop 0                                                    // 000000002D4C: BF800000
	v_cndmask_b32_e64 v115, v66, v115, s[40:41]                // 000000002D50: D1000073 00A2E742
	v_cmp_le_u32_e64 s[40:41], v240, v64                       // 000000002D58: D0CB0028 000281F0
	v_add_u32_e32 v240, 64, v240                               // 000000002D60: 69E1E0C0
	s_nop 0                                                    // 000000002D64: BF800000
	v_cndmask_b32_e64 v116, v66, v116, s[40:41]                // 000000002D68: D1000074 00A2E942
	v_cmp_le_u32_e64 s[40:41], v241, v64                       // 000000002D70: D0CB0028 000281F1
	v_add_u32_e32 v241, 64, v241                               // 000000002D78: 69E3E2C0
	s_nop 0                                                    // 000000002D7C: BF800000
	v_cndmask_b32_e64 v117, v66, v117, s[40:41]                // 000000002D80: D1000075 00A2EB42
	v_cmp_le_u32_e64 s[40:41], v242, v64                       // 000000002D88: D0CB0028 000281F2
	v_add_u32_e32 v242, 64, v242                               // 000000002D90: 69E5E4C0
	s_nop 0                                                    // 000000002D94: BF800000
	v_cndmask_b32_e64 v118, v66, v118, s[40:41]                // 000000002D98: D1000076 00A2ED42
	v_cmp_le_u32_e64 s[40:41], v243, v64                       // 000000002DA0: D0CB0028 000281F3
	v_add_u32_e32 v243, 64, v243                               // 000000002DA8: 69E7E6C0
	s_nop 0                                                    // 000000002DAC: BF800000
	v_cndmask_b32_e64 v119, v66, v119, s[40:41]                // 000000002DB0: D1000077 00A2EF42
	v_cmp_le_u32_e64 s[40:41], v240, v64                       // 000000002DB8: D0CB0028 000281F0
	v_add_u32_e32 v240, 64, v240                               // 000000002DC0: 69E1E0C0
	s_nop 0                                                    // 000000002DC4: BF800000
	v_cndmask_b32_e64 v120, v66, v120, s[40:41]                // 000000002DC8: D1000078 00A2F142
	v_cmp_le_u32_e64 s[40:41], v241, v64                       // 000000002DD0: D0CB0028 000281F1
	v_add_u32_e32 v241, 64, v241                               // 000000002DD8: 69E3E2C0
	s_nop 0                                                    // 000000002DDC: BF800000
	v_cndmask_b32_e64 v121, v66, v121, s[40:41]                // 000000002DE0: D1000079 00A2F342
	v_cmp_le_u32_e64 s[40:41], v242, v64                       // 000000002DE8: D0CB0028 000281F2
	v_add_u32_e32 v242, 64, v242                               // 000000002DF0: 69E5E4C0
	s_nop 0                                                    // 000000002DF4: BF800000
	v_cndmask_b32_e64 v122, v66, v122, s[40:41]                // 000000002DF8: D100007A 00A2F542
	v_cmp_le_u32_e64 s[40:41], v243, v64                       // 000000002E00: D0CB0028 000281F3
	v_add_u32_e32 v243, 64, v243                               // 000000002E08: 69E7E6C0
	s_nop 0                                                    // 000000002E0C: BF800000
	v_cndmask_b32_e64 v123, v66, v123, s[40:41]                // 000000002E10: D100007B 00A2F742
	v_cmp_le_u32_e64 s[40:41], v240, v64                       // 000000002E18: D0CB0028 000281F0
	v_add_u32_e32 v240, 64, v240                               // 000000002E20: 69E1E0C0
	s_nop 0                                                    // 000000002E24: BF800000
	v_cndmask_b32_e64 v124, v66, v124, s[40:41]                // 000000002E28: D100007C 00A2F942
	v_cmp_le_u32_e64 s[40:41], v241, v64                       // 000000002E30: D0CB0028 000281F1
	v_add_u32_e32 v241, 64, v241                               // 000000002E38: 69E3E2C0
	s_nop 0                                                    // 000000002E3C: BF800000
	v_cndmask_b32_e64 v125, v66, v125, s[40:41]                // 000000002E40: D100007D 00A2FB42
	v_cmp_le_u32_e64 s[40:41], v242, v64                       // 000000002E48: D0CB0028 000281F2
	v_add_u32_e32 v242, 64, v242                               // 000000002E50: 69E5E4C0
	s_nop 0                                                    // 000000002E54: BF800000
	v_cndmask_b32_e64 v126, v66, v126, s[40:41]                // 000000002E58: D100007E 00A2FD42
	v_cmp_le_u32_e64 s[40:41], v243, v64                       // 000000002E60: D0CB0028 000281F3
	v_add_u32_e32 v243, 64, v243                               // 000000002E68: 69E7E6C0
	s_nop 0                                                    // 000000002E6C: BF800000
	v_cndmask_b32_e64 v127, v66, v127, s[40:41]                // 000000002E70: D100007F 00A2FF42

0000000000002e78 <label_031E>:
	s_add_u32 s90, s91, s90                                    // 000000002E78: 805A5A5B
	v_mov_b32_e32 v48, v112                                    // 000000002E7C: 7E600370
	v_max3_f32 v48, v112, v113, v48                            // 000000002E80: D1D30030 04C2E370
	v_max3_f32 v48, v114, v115, v48                            // 000000002E88: D1D30030 04C2E772
	v_max3_f32 v48, v116, v117, v48                            // 000000002E90: D1D30030 04C2EB74
	v_max3_f32 v48, v118, v119, v48                            // 000000002E98: D1D30030 04C2EF76
	v_max3_f32 v48, v120, v121, v48                            // 000000002EA0: D1D30030 04C2F378
	v_max3_f32 v48, v122, v123, v48                            // 000000002EA8: D1D30030 04C2F77A
	v_max3_f32 v48, v124, v125, v48                            // 000000002EB0: D1D30030 04C2FB7C
	v_max3_f32 v48, v126, v127, v48                            // 000000002EB8: D1D30030 04C2FF7E
	ds_write_b32 v8, v48 offset:16896                          // 000000002EC0: D81A4200 00003008
	buffer_load_dwordx4 a[56:59], v29, s[16:19], 0 offen       // 000000002EC8: E05C1000 8084381D
	v_mul_u32_u24_dpp v64, v17, v54 row_newbcast:1 row_mask:0xf bank_mask:0xf// 000000002ED0: 10806CFA FF015111
	v_mul_u32_u24_dpp v65, v17, v54 row_newbcast:5 row_mask:0xf bank_mask:0xf// 000000002ED8: 10826CFA FF015511
	v_mul_u32_u24_dpp v66, v17, v54 row_newbcast:9 row_mask:0xf bank_mask:0xf// 000000002EE0: 10846CFA FF015911
	v_mul_u32_u24_dpp v67, v17, v54 row_newbcast:13 row_mask:0xf bank_mask:0xf// 000000002EE8: 10866CFA FF015D11
	v_add_u32_e32 v34, v64, v6                                 // 000000002EF0: 68440D40
	v_add_u32_e32 v35, v65, v6                                 // 000000002EF4: 68460D41
	v_add_u32_e32 v36, v66, v6                                 // 000000002EF8: 68480D42
	v_add_u32_e32 v37, v67, v6                                 // 000000002EFC: 684A0D43
	v_mul_f32_e32 v208, v49, v208                              // 000000002F00: 0BA1A131
	v_mul_f32_e32 v209, v49, v209                              // 000000002F04: 0BA3A331
	v_mul_f32_e32 v210, v49, v210                              // 000000002F08: 0BA5A531
	v_mul_f32_e32 v211, v49, v211                              // 000000002F0C: 0BA7A731
	v_mul_f32_e32 v212, v49, v212                              // 000000002F10: 0BA9A931
	v_mul_f32_e32 v213, v49, v213                              // 000000002F14: 0BABAB31
	v_mul_f32_e32 v214, v49, v214                              // 000000002F18: 0BADAD31
	v_mul_f32_e32 v215, v49, v215                              // 000000002F1C: 0BAFAF31
	s_waitcnt lgkmcnt(0)                                       // 000000002F20: BF8CC07F
	s_barrier                                                  // 000000002F24: BF8A0000
	ds_read_b32 v64, v7 offset:16896                           // 000000002F28: D86C4200 40000007
	ds_read_b32 v65, v7 offset:16960                           // 000000002F30: D86C4240 41000007
	ds_read_b32 v66, v7 offset:17024                           // 000000002F38: D86C4280 42000007
	ds_read_b32 v67, v7 offset:17088                           // 000000002F40: D86C42C0 43000007
	ds_read_b32 v68, v7 offset:17152                           // 000000002F48: D86C4300 44000007
	ds_read_b32 v69, v7 offset:17216                           // 000000002F50: D86C4340 45000007
	ds_read_b32 v70, v7 offset:17280                           // 000000002F58: D86C4380 46000007
	ds_read_b32 v71, v7 offset:17344                           // 000000002F60: D86C43C0 47000007
	ds_read_b32 v72, v7 offset:17408                           // 000000002F68: D86C4400 48000007
	ds_read_b32 v73, v7 offset:17472                           // 000000002F70: D86C4440 49000007
	ds_read_b32 v74, v7 offset:17536                           // 000000002F78: D86C4480 4A000007
	ds_read_b32 v75, v7 offset:17600                           // 000000002F80: D86C44C0 4B000007
	ds_read_b32 v76, v7 offset:17664                           // 000000002F88: D86C4500 4C000007
	ds_read_b32 v77, v7 offset:17728                           // 000000002F90: D86C4540 4D000007
	ds_read_b32 v78, v7 offset:17792                           // 000000002F98: D86C4580 4E000007
	ds_read_b32 v79, v7 offset:17856                           // 000000002FA0: D86C45C0 4F000007
	buffer_load_dwordx4 a[60:63], v29, s[16:19], 0 offen offset:1024// 000000002FA8: E05C1400 80843C1D
	v_mul_f32_e32 v176, v44, v176                              // 000000002FB0: 0B61612C
	v_mul_f32_e32 v177, v44, v177                              // 000000002FB4: 0B63632C
	v_mul_f32_e32 v178, v44, v178                              // 000000002FB8: 0B65652C
	v_mul_f32_e32 v179, v44, v179                              // 000000002FBC: 0B67672C
	v_mul_f32_e32 v180, v44, v180                              // 000000002FC0: 0B69692C
	v_mul_f32_e32 v181, v44, v181                              // 000000002FC4: 0B6B6B2C
	v_mul_f32_e32 v182, v44, v182                              // 000000002FC8: 0B6D6D2C
	v_mul_f32_e32 v183, v44, v183                              // 000000002FCC: 0B6F6F2C
	s_waitcnt lgkmcnt(0)                                       // 000000002FD0: BF8CC07F
	v_max3_f32 v48, v64, v65, v48                              // 000000002FD4: D1D30030 04C28340
	v_max3_f32 v48, v66, v67, v48                              // 000000002FDC: D1D30030 04C28742
	v_max3_f32 v48, v68, v69, v48                              // 000000002FE4: D1D30030 04C28B44
	v_max3_f32 v48, v70, v71, v48                              // 000000002FEC: D1D30030 04C28F46
	v_max3_f32 v48, v72, v73, v48                              // 000000002FF4: D1D30030 04C29348
	v_max3_f32 v48, v74, v75, v48                              // 000000002FFC: D1D30030 04C2974A
	v_max3_f32 v48, v76, v77, v48                              // 000000003004: D1D30030 04C29B4C
	v_max3_f32 v48, v78, v79, v48                              // 00000000300C: D1D30030 04C29F4E
	buffer_load_dwordx4 a[96:99], v34, s[20:23], 0 offen       // 000000003014: E05C1000 80856022
	v_mov_b32_e32 v64, 0xff800000                              // 00000000301C: 7E8002FF FF800000
	v_cmp_eq_u32_e64 s[40:41], v64, v11                        // 000000003024: D0CA0028 00021740
	s_nop 1                                                    // 00000000302C: BF800001
	v_max_f32_e32 v15, v48, v11                                // 000000003030: 161E1730
	v_mul_f32_e32 v53, s64, v15                                // 000000003034: 0A6A1E40
	v_fma_f32 v112, v112, s64, -v53                            // 000000003038: D1CB0070 84D48170
	v_fma_f32 v113, v113, s64, -v53                            // 000000003040: D1CB0071 84D48171
	v_fma_f32 v114, v114, s64, -v53                            // 000000003048: D1CB0072 84D48172
	v_fma_f32 v115, v115, s64, -v53                            // 000000003050: D1CB0073 84D48173
	v_fma_f32 v116, v116, s64, -v53                            // 000000003058: D1CB0074 84D48174
	v_fma_f32 v117, v117, s64, -v53                            // 000000003060: D1CB0075 84D48175
	v_fma_f32 v118, v118, s64, -v53                            // 000000003068: D1CB0076 84D48176
	v_fma_f32 v119, v119, s64, -v53                            // 000000003070: D1CB0077 84D48177
	v_fma_f32 v120, v120, s64, -v53                            // 000000003078: D1CB0078 84D48178
	v_fma_f32 v121, v121, s64, -v53                            // 000000003080: D1CB0079 84D48179
	v_fma_f32 v122, v122, s64, -v53                            // 000000003088: D1CB007A 84D4817A
	v_fma_f32 v123, v123, s64, -v53                            // 000000003090: D1CB007B 84D4817B
	v_fma_f32 v124, v124, s64, -v53                            // 000000003098: D1CB007C 84D4817C
	v_fma_f32 v125, v125, s64, -v53                            // 0000000030A0: D1CB007D 84D4817D
	v_fma_f32 v126, v126, s64, -v53                            // 0000000030A8: D1CB007E 84D4817E
	v_fma_f32 v127, v127, s64, -v53                            // 0000000030B0: D1CB007F 84D4817F
	buffer_load_dwordx4 a[100:103], v35, s[20:23], 0 offen     // 0000000030B8: E05C1000 80856423
	v_exp_f32_e32 v112, v112                                   // 0000000030C0: 7EE04170
	v_exp_f32_e32 v113, v113                                   // 0000000030C4: 7EE24171
	v_exp_f32_e32 v114, v114                                   // 0000000030C8: 7EE44172
	v_exp_f32_e32 v115, v115                                   // 0000000030CC: 7EE64173
	v_exp_f32_e32 v116, v116                                   // 0000000030D0: 7EE84174
	v_exp_f32_e32 v117, v117                                   // 0000000030D4: 7EEA4175
	v_exp_f32_e32 v118, v118                                   // 0000000030D8: 7EEC4176
	v_exp_f32_e32 v119, v119                                   // 0000000030DC: 7EEE4177
	v_exp_f32_e32 v120, v120                                   // 0000000030E0: 7EF04178
	v_exp_f32_e32 v121, v121                                   // 0000000030E4: 7EF24179
	v_exp_f32_e32 v122, v122                                   // 0000000030E8: 7EF4417A
	v_exp_f32_e32 v123, v123                                   // 0000000030EC: 7EF6417B
	v_exp_f32_e32 v124, v124                                   // 0000000030F0: 7EF8417C
	v_exp_f32_e32 v125, v125                                   // 0000000030F4: 7EFA417D
	v_exp_f32_e32 v126, v126                                   // 0000000030F8: 7EFC417E
	v_exp_f32_e32 v127, v127                                   // 0000000030FC: 7EFE417F
	buffer_load_dwordx4 a[104:107], v36, s[20:23], 0 offen     // 000000003100: E05C1000 80856824
	v_mul_f32_dpp v240, v252, v112 quad_perm:[0,0,0,0] row_mask:0xf bank_mask:0xf// 000000003108: 0BE0E0FA FF0000FC
	v_mul_f32_dpp v241, v252, v113 quad_perm:[1,1,1,1] row_mask:0xf bank_mask:0xf// 000000003110: 0BE2E2FA FF0055FC
	v_mul_f32_dpp v242, v252, v114 quad_perm:[2,2,2,2] row_mask:0xf bank_mask:0xf// 000000003118: 0BE4E4FA FF00AAFC
	v_mul_f32_dpp v243, v252, v115 quad_perm:[3,3,3,3] row_mask:0xf bank_mask:0xf// 000000003120: 0BE6E6FA FF00FFFC
	v_mul_f32_dpp v244, v253, v116 quad_perm:[0,0,0,0] row_mask:0xf bank_mask:0xf// 000000003128: 0BE8E8FA FF0000FD
	v_mul_f32_dpp v245, v253, v117 quad_perm:[1,1,1,1] row_mask:0xf bank_mask:0xf// 000000003130: 0BEAEAFA FF0055FD
	v_mul_f32_dpp v246, v253, v118 quad_perm:[2,2,2,2] row_mask:0xf bank_mask:0xf// 000000003138: 0BECECFA FF00AAFD
	v_mul_f32_dpp v247, v253, v119 quad_perm:[3,3,3,3] row_mask:0xf bank_mask:0xf// 000000003140: 0BEEEEFA FF00FFFD
	v_mul_f32_dpp v248, v254, v120 quad_perm:[0,0,0,0] row_mask:0xf bank_mask:0xf// 000000003148: 0BF0F0FA FF0000FE
	v_mul_f32_dpp v249, v254, v121 quad_perm:[1,1,1,1] row_mask:0xf bank_mask:0xf// 000000003150: 0BF2F2FA FF0055FE
	v_mul_f32_dpp v250, v254, v122 quad_perm:[2,2,2,2] row_mask:0xf bank_mask:0xf// 000000003158: 0BF4F4FA FF00AAFE
	v_mul_f32_dpp v251, v254, v123 quad_perm:[3,3,3,3] row_mask:0xf bank_mask:0xf// 000000003160: 0BF6F6FA FF00FFFE
	v_mul_f32_dpp v252, v255, v124 quad_perm:[0,0,0,0] row_mask:0xf bank_mask:0xf// 000000003168: 0BF8F8FA FF0000FF
	v_mul_f32_dpp v253, v255, v125 quad_perm:[1,1,1,1] row_mask:0xf bank_mask:0xf// 000000003170: 0BFAFAFA FF0055FF
	v_mul_f32_dpp v254, v255, v126 quad_perm:[2,2,2,2] row_mask:0xf bank_mask:0xf// 000000003178: 0BFCFCFA FF00AAFF
	v_mul_f32_dpp v255, v255, v127 quad_perm:[3,3,3,3] row_mask:0xf bank_mask:0xf// 000000003180: 0BFEFEFA FF00FFFF
	v_mov_b32_e32 v48, 0x358637bd                              // 000000003188: 7E6002FF 358637BD
	v_max3_f32 v48, |v240|, |v241|, v48                        // 000000003190: D1D30330 04C3E3F0
	v_max3_f32 v48, |v242|, |v243|, v48                        // 000000003198: D1D30330 04C3E7F2
	v_max3_f32 v48, |v244|, |v245|, v48                        // 0000000031A0: D1D30330 04C3EBF4
	v_max3_f32 v48, |v246|, |v247|, v48                        // 0000000031A8: D1D30330 04C3EFF6
	v_max3_f32 v48, |v248|, |v249|, v48                        // 0000000031B0: D1D30330 04C3F3F8
	v_max3_f32 v48, |v250|, |v251|, v48                        // 0000000031B8: D1D30330 04C3F7FA
	v_max3_f32 v48, |v252|, |v253|, v48                        // 0000000031C0: D1D30330 04C3FBFC
	v_max3_f32 v48, |v254|, |v255|, v48                        // 0000000031C8: D1D30330 04C3FFFE
	buffer_load_dwordx4 a[108:111], v37, s[20:23], 0 offen     // 0000000031D0: E05C1000 80856C25
	ds_write_b32 v8, v48 offset:20992                          // 0000000031D8: D81A5200 00003008
	v_sub_f32_e32 v49, v11, v15                                // 0000000031E0: 04621F0B
	v_cndmask_b32_e64 v49, v49, 0, s[40:41]                    // 0000000031E4: D1000031 00A10131
	v_mov_b32_e32 v11, v15                                     // 0000000031EC: 7E16030F
	v_mul_f32_e32 v49, s64, v49                                // 0000000031F0: 0A626240
	v_exp_f32_e32 v49, v49                                     // 0000000031F4: 7E624131
	s_waitcnt lgkmcnt(0)                                       // 0000000031F8: BF8CC07F
	s_barrier                                                  // 0000000031FC: BF8A0000
	ds_read_b32 v64, v7 offset:20992                           // 000000003200: D86C5200 40000007
	ds_read_b32 v65, v7 offset:21056                           // 000000003208: D86C5240 41000007
	ds_read_b32 v66, v7 offset:21120                           // 000000003210: D86C5280 42000007
	ds_read_b32 v67, v7 offset:21184                           // 000000003218: D86C52C0 43000007
	ds_read_b32 v68, v7 offset:21248                           // 000000003220: D86C5300 44000007
	ds_read_b32 v69, v7 offset:21312                           // 000000003228: D86C5340 45000007
	ds_read_b32 v70, v7 offset:21376                           // 000000003230: D86C5380 46000007
	ds_read_b32 v71, v7 offset:21440                           // 000000003238: D86C53C0 47000007
	ds_read_b32 v72, v7 offset:21504                           // 000000003240: D86C5400 48000007
	ds_read_b32 v73, v7 offset:21568                           // 000000003248: D86C5440 49000007
	ds_read_b32 v74, v7 offset:21632                           // 000000003250: D86C5480 4A000007
	ds_read_b32 v75, v7 offset:21696                           // 000000003258: D86C54C0 4B000007
	ds_read_b32 v76, v7 offset:21760                           // 000000003260: D86C5500 4C000007
	ds_read_b32 v77, v7 offset:21824                           // 000000003268: D86C5540 4D000007
	ds_read_b32 v78, v7 offset:21888                           // 000000003270: D86C5580 4E000007
	ds_read_b32 v79, v7 offset:21952                           // 000000003278: D86C55C0 4F000007
	v_mul_f32_e32 v38, v49, v38                                // 000000003280: 0A4C4D31
	v_mov_b32_e32 v15, v112                                    // 000000003284: 7E1E0370
	v_add_f32_e32 v15, v113, v15                               // 000000003288: 021E1F71
	v_add_f32_e32 v15, v114, v15                               // 00000000328C: 021E1F72
	v_add_f32_e32 v15, v115, v15                               // 000000003290: 021E1F73
	v_add_f32_e32 v15, v116, v15                               // 000000003294: 021E1F74
	v_add_f32_e32 v15, v117, v15                               // 000000003298: 021E1F75
	v_add_f32_e32 v15, v118, v15                               // 00000000329C: 021E1F76
	v_add_f32_e32 v15, v119, v15                               // 0000000032A0: 021E1F77
	v_add_f32_e32 v15, v120, v15                               // 0000000032A4: 021E1F78
	v_add_f32_e32 v15, v121, v15                               // 0000000032A8: 021E1F79
	v_add_f32_e32 v15, v122, v15                               // 0000000032AC: 021E1F7A
	v_add_f32_e32 v15, v123, v15                               // 0000000032B0: 021E1F7B
	v_add_f32_e32 v15, v124, v15                               // 0000000032B4: 021E1F7C
	v_add_f32_e32 v15, v125, v15                               // 0000000032B8: 021E1F7D
	v_add_f32_e32 v15, v126, v15                               // 0000000032BC: 021E1F7E
	v_add_f32_e32 v15, v127, v15                               // 0000000032C0: 021E1F7F
	v_add_f32_e32 v38, v15, v38                                // 0000000032C4: 024C4D0F
	s_waitcnt lgkmcnt(0)                                       // 0000000032C8: BF8CC07F
	v_max3_f32 v48, |v64|, |v65|, v48                          // 0000000032CC: D1D30330 04C28340
	v_max3_f32 v48, |v66|, |v67|, v48                          // 0000000032D4: D1D30330 04C28742
	v_max3_f32 v48, |v68|, |v69|, v48                          // 0000000032DC: D1D30330 04C28B44
	v_max3_f32 v48, |v70|, |v71|, v48                          // 0000000032E4: D1D30330 04C28F46
	v_max3_f32 v48, |v72|, |v73|, v48                          // 0000000032EC: D1D30330 04C29348
	v_max3_f32 v48, |v74|, |v75|, v48                          // 0000000032F4: D1D30330 04C2974A
	v_max3_f32 v48, |v76|, |v77|, v48                          // 0000000032FC: D1D30330 04C29B4C
	v_max3_f32 v48, |v78|, |v79|, v48                          // 000000003304: D1D30330 04C29F4E
	s_nop 2                                                    // 00000000330C: BF800002
	v_rcp_f32_e32 v48, v48                                     // 000000003310: 7E604530
	s_nop 1                                                    // 000000003314: BF800001
	v_mul_f32_e32 v48, 0x43e00000, v48                         // 000000003318: 0A6060FF 43E00000
	v_mul_f32_e32 v112, v48, v240                              // 000000003320: 0AE1E130
	v_mul_f32_e32 v113, v48, v241                              // 000000003324: 0AE3E330
	v_mul_f32_e32 v114, v48, v242                              // 000000003328: 0AE5E530
	v_mul_f32_e32 v115, v48, v243                              // 00000000332C: 0AE7E730
	v_mul_f32_e32 v116, v48, v244                              // 000000003330: 0AE9E930
	v_mul_f32_e32 v117, v48, v245                              // 000000003334: 0AEBEB30
	v_mul_f32_e32 v118, v48, v246                              // 000000003338: 0AEDED30
	v_mul_f32_e32 v119, v48, v247                              // 00000000333C: 0AEFEF30
	v_mul_f32_e32 v120, v48, v248                              // 000000003340: 0AF1F130
	v_mul_f32_e32 v121, v48, v249                              // 000000003344: 0AF3F330
	v_mul_f32_e32 v122, v48, v250                              // 000000003348: 0AF5F530
	v_mul_f32_e32 v123, v48, v251                              // 00000000334C: 0AF7F730
	v_mul_f32_e32 v124, v48, v252                              // 000000003350: 0AF9F930
	v_mul_f32_e32 v125, v48, v253                              // 000000003354: 0AFBFB30
	v_mul_f32_e32 v126, v48, v254                              // 000000003358: 0AFDFD30
	v_mul_f32_e32 v127, v48, v255                              // 00000000335C: 0AFFFF30
	v_cvt_pk_fp8_f32 v112, v112, v113                          // 000000003360: D2A20070 0002E370
	v_cvt_pk_fp8_f32 v112, v114, v115 op_sel:[0,0,1]           // 000000003368: D2A24070 0002E772
	v_cvt_pk_fp8_f32 v113, v116, v117                          // 000000003370: D2A20071 0002EB74
	v_cvt_pk_fp8_f32 v113, v118, v119 op_sel:[0,0,1]           // 000000003378: D2A24071 0002EF76
	v_cvt_pk_fp8_f32 v114, v120, v121                          // 000000003380: D2A20072 0002F378
	v_cvt_pk_fp8_f32 v114, v122, v123 op_sel:[0,0,1]           // 000000003388: D2A24072 0002F77A
	v_cvt_pk_fp8_f32 v115, v124, v125                          // 000000003390: D2A20073 0002FB7C
	v_cvt_pk_fp8_f32 v115, v126, v127 op_sel:[0,0,1]           // 000000003398: D2A24073 0002FF7E
	ds_write_b32 v10, v112 offset:25088                        // 0000000033A0: D81A6200 0000700A
	ds_write_b32 v10, v113 offset:26112                        // 0000000033A8: D81A6600 0000710A
	ds_write_b32 v10, v114 offset:27136                        // 0000000033B0: D81A6A00 0000720A
	ds_write_b32 v10, v115 offset:28160                        // 0000000033B8: D81A6E00 0000730A
	v_add_f32_e32 v208, v208, v176                             // 0000000033C0: 03A161D0
	v_add_f32_e32 v209, v209, v177                             // 0000000033C4: 03A363D1
	v_add_f32_e32 v210, v210, v178                             // 0000000033C8: 03A565D2
	v_add_f32_e32 v211, v211, v179                             // 0000000033CC: 03A767D3
	v_add_f32_e32 v212, v212, v180                             // 0000000033D0: 03A969D4
	v_add_f32_e32 v213, v213, v181                             // 0000000033D4: 03AB6BD5
	v_add_f32_e32 v214, v214, v182                             // 0000000033D8: 03AD6DD6
	v_add_f32_e32 v215, v215, v183                             // 0000000033DC: 03AF6FD7
	v_rcp_f32_e32 v44, v48                                     // 0000000033E0: 7E584530
	s_waitcnt lgkmcnt(0)                                       // 0000000033E4: BF8CC07F
	s_barrier                                                  // 0000000033E8: BF8A0000
	ds_read_b64 v[112:113], v9 offset:25088                    // 0000000033EC: D8EC6200 70000009
	ds_read_b64 v[114:115], v9 offset:25216                    // 0000000033F4: D8EC6280 72000009
	ds_read_b64 v[116:117], v9 offset:26112                    // 0000000033FC: D8EC6600 74000009
	ds_read_b64 v[118:119], v9 offset:26240                    // 000000003404: D8EC6680 76000009
	ds_read_b64 v[120:121], v9 offset:27136                    // 00000000340C: D8EC6A00 78000009
	ds_read_b64 v[122:123], v9 offset:27264                    // 000000003414: D8EC6A80 7A000009
	ds_read_b64 v[124:125], v9 offset:28160                    // 00000000341C: D8EC6E00 7C000009
	ds_read_b64 v[126:127], v9 offset:28288                    // 000000003424: D8EC6E80 7E000009
	s_waitcnt vmcnt(15)                                        // 00000000342C: BF8C0F7F
	s_waitcnt lgkmcnt(7)                                       // 000000003430: BF8CC77F
	v_mfma_f32_16x16x32_fp8_fp8 v[176:179], a[64:65], v[112:113], 0// 000000003434: D3F300B0 0A02E140
	s_waitcnt lgkmcnt(6)                                       // 00000000343C: BF8CC67F
	v_mfma_f32_16x16x32_fp8_fp8 v[176:179], a[66:67], v[114:115], v[176:179]// 000000003440: D3F300B0 0EC2E542
	buffer_load_dwordx4 a[112:115], v34, s[20:23], 0 offen offset:1024// 000000003448: E05C1400 80857022
	s_waitcnt lgkmcnt(5)                                       // 000000003450: BF8CC57F
	v_mfma_f32_16x16x32_fp8_fp8 v[176:179], a[68:69], v[116:117], v[176:179]// 000000003454: D3F300B0 0EC2E944
	s_waitcnt lgkmcnt(4)                                       // 00000000345C: BF8CC47F
	v_mfma_f32_16x16x32_fp8_fp8 v[176:179], a[70:71], v[118:119], v[176:179]// 000000003460: D3F300B0 0EC2ED46
	s_waitcnt lgkmcnt(3)                                       // 000000003468: BF8CC37F
	v_mfma_f32_16x16x32_fp8_fp8 v[176:179], a[72:73], v[120:121], v[176:179]// 00000000346C: D3F300B0 0EC2F148
	s_waitcnt lgkmcnt(2)                                       // 000000003474: BF8CC27F
	v_mfma_f32_16x16x32_fp8_fp8 v[176:179], a[74:75], v[122:123], v[176:179]// 000000003478: D3F300B0 0EC2F54A
	buffer_load_dwordx4 a[116:119], v35, s[20:23], 0 offen offset:1024// 000000003480: E05C1400 80857423
	s_waitcnt lgkmcnt(1)                                       // 000000003488: BF8CC17F
	v_mfma_f32_16x16x32_fp8_fp8 v[176:179], a[76:77], v[124:125], v[176:179]// 00000000348C: D3F300B0 0EC2F94C
	s_waitcnt lgkmcnt(0)                                       // 000000003494: BF8CC07F
	v_mfma_f32_16x16x32_fp8_fp8 v[176:179], a[78:79], v[126:127], v[176:179]// 000000003498: D3F300B0 0EC2FD4E
	v_mfma_f32_16x16x32_fp8_fp8 v[180:183], a[80:81], v[112:113], 0// 0000000034A0: D3F300B4 0A02E150
	v_mfma_f32_16x16x32_fp8_fp8 v[180:183], a[82:83], v[114:115], v[180:183]// 0000000034A8: D3F300B4 0ED2E552
	buffer_load_dwordx4 a[120:123], v36, s[20:23], 0 offen offset:1024// 0000000034B0: E05C1400 80857824
	v_mfma_f32_16x16x32_fp8_fp8 v[180:183], a[84:85], v[116:117], v[180:183]// 0000000034B8: D3F300B4 0ED2E954
	v_mfma_f32_16x16x32_fp8_fp8 v[180:183], a[86:87], v[118:119], v[180:183]// 0000000034C0: D3F300B4 0ED2ED56
	v_mfma_f32_16x16x32_fp8_fp8 v[180:183], a[88:89], v[120:121], v[180:183]// 0000000034C8: D3F300B4 0ED2F158
	v_mfma_f32_16x16x32_fp8_fp8 v[180:183], a[90:91], v[122:123], v[180:183]// 0000000034D0: D3F300B4 0ED2F55A
	buffer_load_dwordx4 a[124:127], v37, s[20:23], 0 offen offset:1024// 0000000034D8: E05C1400 80857C25
	v_mfma_f32_16x16x32_fp8_fp8 v[180:183], a[92:93], v[124:125], v[180:183]// 0000000034E0: D3F300B4 0ED2F95C
	s_lshr_b32 s57, s70, 4                                     // 0000000034E8: 8F398446
	s_add_u32 s57, 48, s57                                     // 0000000034EC: 803939B0
	v_mfma_f32_16x16x32_fp8_fp8 v[180:183], a[94:95], v[126:127], v[180:183]// 0000000034F0: D3F300B4 0ED2FD5E
	s_cmp_ge_u32 s57, s73                                      // 0000000034F8: BF094939
	s_cselect_b32 s56, 0, s56                                  // 0000000034FC: 85383880
	v_add_u32_e32 v1, s56, v1                                  // 000000003500: 68020238
	s_addk_i32 s70, 0x100                                      // 000000003504: B7460100
	s_cmp_lt_i32 s70, s71                                      // 000000003508: BF044746
	s_cbranch_scc0 label_0787                                  // 00000000350C: BF8402C3
	s_waitcnt vmcnt(8) lgkmcnt(0)                              // 000000003510: BF8C0078
	v_mul_u32_u24_dpp v64, v16, v54 row_newbcast:0 row_mask:0xf bank_mask:0xf// 000000003514: 10806CFA FF015010
	v_mul_u32_u24_dpp v65, v16, v54 row_newbcast:4 row_mask:0xf bank_mask:0xf// 00000000351C: 10826CFA FF015410
	v_mul_u32_u24_dpp v66, v16, v54 row_newbcast:8 row_mask:0xf bank_mask:0xf// 000000003524: 10846CFA FF015810
	v_mul_u32_u24_dpp v67, v16, v54 row_newbcast:12 row_mask:0xf bank_mask:0xf// 00000000352C: 10866CFA FF015C10
	v_add_u32_e32 v22, v64, v5                                 // 000000003534: 682C0B40
	v_add_u32_e32 v23, v65, v5                                 // 000000003538: 682E0B41
	v_add_u32_e32 v24, v66, v5                                 // 00000000353C: 68300B42
	v_add_u32_e32 v25, v67, v5                                 // 000000003540: 68320B43
	v_mul_u32_u24_dpp v64, v16, v63 quad_perm:[0,0,0,0] row_mask:0xf bank_mask:0xf// 000000003544: 10807EFA FF000010
	v_add_u32_e32 v2, v64, v59                                 // 00000000354C: 68047740
	v_mul_u32_u24_dpp v64, v16, v63 quad_perm:[0,0,0,0] row_mask:0xf bank_mask:0xf// 000000003550: 10807EFA FF000010
	v_add_u32_e32 v55, v64, v60                                // 000000003558: 686E7940
	v_mfma_f32_16x16x32_fp8_fp8 v[112:115], a[32:33], v[80:81], 0// 00000000355C: D3F30070 0A02A120
	v_mfma_f32_16x16x32_fp8_fp8 v[112:115], a[34:35], v[82:83], v[112:115]// 000000003564: D3F30070 0DC2A522
	buffer_load_dwordx4 a[0:3], v22, s[16:19], 0 offen         // 00000000356C: E05C1000 80840016
	v_mfma_f32_16x16x32_fp8_fp8 v[112:115], a[36:37], v[84:85], v[112:115]// 000000003574: D3F30070 0DC2A924
	v_mfma_f32_16x16x32_fp8_fp8 v[112:115], a[38:39], v[86:87], v[112:115]// 00000000357C: D3F30070 0DC2AD26
	buffer_load_dword v17, v1, s[24:27], 0 offen               // 000000003584: E0501000 80061101
	v_mfma_f32_16x16x32_fp8_fp8 v[116:119], a[40:41], v[80:81], 0// 00000000358C: D3F30074 0A02A128
	v_mfma_f32_16x16x32_fp8_fp8 v[116:119], a[42:43], v[82:83], v[116:119]// 000000003594: D3F30074 0DD2A52A
	buffer_load_dwordx4 a[4:7], v22, s[16:19], 0 offen offset:1024// 00000000359C: E05C1400 80840416
	v_mfma_f32_16x16x32_fp8_fp8 v[116:119], a[44:45], v[84:85], v[116:119]// 0000000035A4: D3F30074 0DD2A92C
	v_mfma_f32_16x16x32_fp8_fp8 v[116:119], a[46:47], v[86:87], v[116:119]// 0000000035AC: D3F30074 0DD2AD2E
	v_mfma_f32_16x16x32_fp8_fp8 v[120:123], a[48:49], v[80:81], 0// 0000000035B4: D3F30078 0A02A130
	v_mfma_f32_16x16x32_fp8_fp8 v[120:123], a[50:51], v[82:83], v[120:123]// 0000000035BC: D3F30078 0DE2A532
	buffer_load_dwordx4 a[8:11], v23, s[16:19], 0 offen        // 0000000035C4: E05C1000 80840817
	v_mfma_f32_16x16x32_fp8_fp8 v[120:123], a[52:53], v[84:85], v[120:123]// 0000000035CC: D3F30078 0DE2A934
	v_mfma_f32_16x16x32_fp8_fp8 v[120:123], a[54:55], v[86:87], v[120:123]// 0000000035D4: D3F30078 0DE2AD36
	v_mfma_f32_16x16x32_fp8_fp8 v[124:127], a[56:57], v[80:81], 0// 0000000035DC: D3F3007C 0A02A138
	v_mfma_f32_16x16x32_fp8_fp8 v[124:127], a[58:59], v[82:83], v[124:127]// 0000000035E4: D3F3007C 0DF2A53A
	buffer_load_dwordx4 a[12:15], v23, s[16:19], 0 offen offset:1024// 0000000035EC: E05C1400 80840C17
	v_mfma_f32_16x16x32_fp8_fp8 v[124:127], a[60:61], v[84:85], v[124:127]// 0000000035F4: D3F3007C 0DF2A93C
	v_mfma_f32_16x16x32_fp8_fp8 v[124:127], a[62:63], v[86:87], v[124:127]// 0000000035FC: D3F3007C 0DF2AD3E
	buffer_load_dword v42, v2, s[32:35], 0 offen               // 000000003604: E0501000 80082A02
	v_mov_b32_dpp v64, v43 row_shr:4 row_mask:0xf bank_mask:0xf// 00000000360C: 7E8002FA FF01142B
	v_mov_b32_dpp v65, v43 row_shl:4 row_mask:0xf bank_mask:0xf// 000000003614: 7E8202FA FF01042B
	v_cndmask_b32_e64 v248, v43, v64, s[44:45]                 // 00000000361C: D10000F8 00B2812B
	v_cndmask_b32_e64 v249, v65, v43, s[44:45]                 // 000000003624: D10000F9 00B25741
	v_mov_b32_dpp v64, v248 row_shr:8 row_mask:0xf bank_mask:0xf// 00000000362C: 7E8002FA FF0118F8
	v_mov_b32_dpp v65, v248 row_shl:8 row_mask:0xf bank_mask:0xf// 000000003634: 7E8202FA FF0108F8
	v_mov_b32_dpp v66, v249 row_shr:8 row_mask:0xf bank_mask:0xf// 00000000363C: 7E8402FA FF0118F9
	v_mov_b32_dpp v67, v249 row_shl:8 row_mask:0xf bank_mask:0xf// 000000003644: 7E8602FA FF0108F9
	v_mov_b32_e32 v68, v248                                    // 00000000364C: 7E8803F8
	v_mov_b32_e32 v69, v249                                    // 000000003650: 7E8A03F9
	v_cndmask_b32_e64 v248, v68, v64, s[42:43]                 // 000000003654: D10000F8 00AA8144
	v_cndmask_b32_e64 v250, v68, v65, s[78:79]                 // 00000000365C: D10000FA 013A8344
	v_cndmask_b32_e64 v249, v69, v66, s[42:43]                 // 000000003664: D10000F9 00AA8545
	v_cndmask_b32_e64 v251, v69, v67, s[78:79]                 // 00000000366C: D10000FB 013A8745
	v_mov_b32_dpp v64, v58 row_shr:4 row_mask:0xf bank_mask:0xf// 000000003674: 7E8002FA FF01143A
	v_mov_b32_dpp v65, v58 row_shl:4 row_mask:0xf bank_mask:0xf// 00000000367C: 7E8202FA FF01043A
	v_cndmask_b32_e64 v252, v58, v64, s[44:45]                 // 000000003684: D10000FC 00B2813A
	v_cndmask_b32_e64 v253, v65, v58, s[44:45]                 // 00000000368C: D10000FD 00B27541
	v_mov_b32_dpp v64, v252 row_shr:8 row_mask:0xf bank_mask:0xf// 000000003694: 7E8002FA FF0118FC
	v_mov_b32_dpp v65, v252 row_shl:8 row_mask:0xf bank_mask:0xf// 00000000369C: 7E8202FA FF0108FC
	v_mov_b32_dpp v66, v253 row_shr:8 row_mask:0xf bank_mask:0xf// 0000000036A4: 7E8402FA FF0118FD
	v_mov_b32_dpp v67, v253 row_shl:8 row_mask:0xf bank_mask:0xf// 0000000036AC: 7E8602FA FF0108FD
	v_mov_b32_e32 v68, v252                                    // 0000000036B4: 7E8803FC
	v_mov_b32_e32 v69, v253                                    // 0000000036B8: 7E8A03FD
	v_cndmask_b32_e64 v252, v68, v64, s[42:43]                 // 0000000036BC: D10000FC 00AA8144
	v_cndmask_b32_e64 v254, v68, v65, s[78:79]                 // 0000000036C4: D10000FE 013A8344
	v_cndmask_b32_e64 v253, v69, v66, s[42:43]                 // 0000000036CC: D10000FD 00AA8545
	v_cndmask_b32_e64 v255, v69, v67, s[78:79]                 // 0000000036D4: D10000FF 013A8745
	buffer_load_dword v57, v55, s[36:39], 0 offen              // 0000000036DC: E0501000 80093937
	v_mul_f32_e32 v112, v18, v112                              // 0000000036E4: 0AE0E112
	v_mul_f32_e32 v113, v18, v113                              // 0000000036E8: 0AE2E312
	v_mul_f32_e32 v114, v18, v114                              // 0000000036EC: 0AE4E512
	v_mul_f32_e32 v115, v18, v115                              // 0000000036F0: 0AE6E712
	v_mul_f32_e32 v116, v18, v116                              // 0000000036F4: 0AE8E912
	v_mul_f32_e32 v117, v18, v117                              // 0000000036F8: 0AEAEB12
	v_mul_f32_e32 v118, v18, v118                              // 0000000036FC: 0AECED12
	v_mul_f32_e32 v119, v18, v119                              // 000000003700: 0AEEEF12
	v_mul_f32_e32 v120, v18, v120                              // 000000003704: 0AF0F112
	v_mul_f32_e32 v121, v18, v121                              // 000000003708: 0AF2F312
	v_mul_f32_e32 v122, v18, v122                              // 00000000370C: 0AF4F512
	v_mul_f32_e32 v123, v18, v123                              // 000000003710: 0AF6F712
	v_mul_f32_e32 v124, v18, v124                              // 000000003714: 0AF8F912
	v_mul_f32_e32 v125, v18, v125                              // 000000003718: 0AFAFB12
	v_mul_f32_e32 v126, v18, v126                              // 00000000371C: 0AFCFD12
	v_mul_f32_e32 v127, v18, v127                              // 000000003720: 0AFEFF12
	buffer_load_dwordx4 a[16:19], v24, s[16:19], 0 offen       // 000000003724: E05C1000 80841018
	v_mul_f32_dpp v112, v248, v112 quad_perm:[0,0,0,0] row_mask:0xf bank_mask:0xf// 00000000372C: 0AE0E0FA FF0000F8
	v_mul_f32_dpp v113, v248, v113 quad_perm:[1,1,1,1] row_mask:0xf bank_mask:0xf// 000000003734: 0AE2E2FA FF0055F8
	v_mul_f32_dpp v114, v248, v114 quad_perm:[2,2,2,2] row_mask:0xf bank_mask:0xf// 00000000373C: 0AE4E4FA FF00AAF8
	v_mul_f32_dpp v115, v248, v115 quad_perm:[3,3,3,3] row_mask:0xf bank_mask:0xf// 000000003744: 0AE6E6FA FF00FFF8
	v_mul_f32_dpp v116, v249, v116 quad_perm:[0,0,0,0] row_mask:0xf bank_mask:0xf// 00000000374C: 0AE8E8FA FF0000F9
	v_mul_f32_dpp v117, v249, v117 quad_perm:[1,1,1,1] row_mask:0xf bank_mask:0xf// 000000003754: 0AEAEAFA FF0055F9
	v_mul_f32_dpp v118, v249, v118 quad_perm:[2,2,2,2] row_mask:0xf bank_mask:0xf// 00000000375C: 0AECECFA FF00AAF9
	v_mul_f32_dpp v119, v249, v119 quad_perm:[3,3,3,3] row_mask:0xf bank_mask:0xf// 000000003764: 0AEEEEFA FF00FFF9
	v_mul_f32_dpp v120, v250, v120 quad_perm:[0,0,0,0] row_mask:0xf bank_mask:0xf// 00000000376C: 0AF0F0FA FF0000FA
	v_mul_f32_dpp v121, v250, v121 quad_perm:[1,1,1,1] row_mask:0xf bank_mask:0xf// 000000003774: 0AF2F2FA FF0055FA
	v_mul_f32_dpp v122, v250, v122 quad_perm:[2,2,2,2] row_mask:0xf bank_mask:0xf// 00000000377C: 0AF4F4FA FF00AAFA
	v_mul_f32_dpp v123, v250, v123 quad_perm:[3,3,3,3] row_mask:0xf bank_mask:0xf// 000000003784: 0AF6F6FA FF00FFFA
	v_mul_f32_dpp v124, v251, v124 quad_perm:[0,0,0,0] row_mask:0xf bank_mask:0xf// 00000000378C: 0AF8F8FA FF0000FB
	v_mul_f32_dpp v125, v251, v125 quad_perm:[1,1,1,1] row_mask:0xf bank_mask:0xf// 000000003794: 0AFAFAFA FF0055FB
	v_mul_f32_dpp v126, v251, v126 quad_perm:[2,2,2,2] row_mask:0xf bank_mask:0xf// 00000000379C: 0AFCFCFA FF00AAFB
	v_mul_f32_dpp v127, v251, v127 quad_perm:[3,3,3,3] row_mask:0xf bank_mask:0xf// 0000000037A4: 0AFEFEFA FF00FFFB
	buffer_load_dwordx4 a[20:23], v24, s[16:19], 0 offen offset:1024// 0000000037AC: E05C1400 80841418
	s_cmp_le_i32 s90, s89                                      // 0000000037B4: BF05595A
	s_cbranch_scc1 label_05E0                                  // 0000000037B8: BF850071
	v_mov_b32_e32 v66, 0xff800000                              // 0000000037BC: 7E8402FF FF800000
	s_mov_b32 s60, s90                                         // 0000000037C4: BEBC005A
	s_add_u32 s61, s89, 0xff                                   // 0000000037C8: 803DFF59 000000FF
	v_mov_b32_e32 v64, s61                                     // 0000000037D0: 7E80023D
	v_lshrrev_b32_e32 v240, 4, v0                              // 0000000037D4: 21E00084
	v_mul_i32_i24_e32 v240, 4, v240                            // 0000000037D8: 0DE1E084
	v_add_u32_e32 v240, s60, v240                              // 0000000037DC: 69E1E03C
	s_mov_b32 s61, 0                                           // 0000000037E0: BEBD0080
	s_mul_i32 s60, 16, s7                                      // 0000000037E4: 923C0790
	v_sub_u32_e64 v240, v240, s61                              // 0000000037E8: D13500F0 00007BF0
	v_add_u32_e32 v240, s60, v240                              // 0000000037F0: 69E1E03C
	v_add_u32_e32 v241, 1, v240                                // 0000000037F4: 69E3E081
	v_add_u32_e32 v242, 2, v240                                // 0000000037F8: 69E5E082
	v_add_u32_e32 v243, 3, v240                                // 0000000037FC: 69E7E083
	v_cmp_le_u32_e64 s[40:41], v240, v64                       // 000000003800: D0CB0028 000281F0
	v_add_u32_e32 v240, 64, v240                               // 000000003808: 69E1E0C0
	s_nop 0                                                    // 00000000380C: BF800000
	v_cndmask_b32_e64 v112, v66, v112, s[40:41]                // 000000003810: D1000070 00A2E142
	v_cmp_le_u32_e64 s[40:41], v241, v64                       // 000000003818: D0CB0028 000281F1
	v_add_u32_e32 v241, 64, v241                               // 000000003820: 69E3E2C0
	s_nop 0                                                    // 000000003824: BF800000
	v_cndmask_b32_e64 v113, v66, v113, s[40:41]                // 000000003828: D1000071 00A2E342
	v_cmp_le_u32_e64 s[40:41], v242, v64                       // 000000003830: D0CB0028 000281F2
	v_add_u32_e32 v242, 64, v242                               // 000000003838: 69E5E4C0
	s_nop 0                                                    // 00000000383C: BF800000
	v_cndmask_b32_e64 v114, v66, v114, s[40:41]                // 000000003840: D1000072 00A2E542
	v_cmp_le_u32_e64 s[40:41], v243, v64                       // 000000003848: D0CB0028 000281F3
	v_add_u32_e32 v243, 64, v243                               // 000000003850: 69E7E6C0
	s_nop 0                                                    // 000000003854: BF800000
	v_cndmask_b32_e64 v115, v66, v115, s[40:41]                // 000000003858: D1000073 00A2E742
	v_cmp_le_u32_e64 s[40:41], v240, v64                       // 000000003860: D0CB0028 000281F0
	v_add_u32_e32 v240, 64, v240                               // 000000003868: 69E1E0C0
	s_nop 0                                                    // 00000000386C: BF800000
	v_cndmask_b32_e64 v116, v66, v116, s[40:41]                // 000000003870: D1000074 00A2E942
	v_cmp_le_u32_e64 s[40:41], v241, v64                       // 000000003878: D0CB0028 000281F1
	v_add_u32_e32 v241, 64, v241                               // 000000003880: 69E3E2C0
	s_nop 0                                                    // 000000003884: BF800000
	v_cndmask_b32_e64 v117, v66, v117, s[40:41]                // 000000003888: D1000075 00A2EB42
	v_cmp_le_u32_e64 s[40:41], v242, v64                       // 000000003890: D0CB0028 000281F2
	v_add_u32_e32 v242, 64, v242                               // 000000003898: 69E5E4C0
	s_nop 0                                                    // 00000000389C: BF800000
	v_cndmask_b32_e64 v118, v66, v118, s[40:41]                // 0000000038A0: D1000076 00A2ED42
	v_cmp_le_u32_e64 s[40:41], v243, v64                       // 0000000038A8: D0CB0028 000281F3
	v_add_u32_e32 v243, 64, v243                               // 0000000038B0: 69E7E6C0
	s_nop 0                                                    // 0000000038B4: BF800000
	v_cndmask_b32_e64 v119, v66, v119, s[40:41]                // 0000000038B8: D1000077 00A2EF42
	v_cmp_le_u32_e64 s[40:41], v240, v64                       // 0000000038C0: D0CB0028 000281F0
	v_add_u32_e32 v240, 64, v240                               // 0000000038C8: 69E1E0C0
	s_nop 0                                                    // 0000000038CC: BF800000
	v_cndmask_b32_e64 v120, v66, v120, s[40:41]                // 0000000038D0: D1000078 00A2F142
	v_cmp_le_u32_e64 s[40:41], v241, v64                       // 0000000038D8: D0CB0028 000281F1
	v_add_u32_e32 v241, 64, v241                               // 0000000038E0: 69E3E2C0
	s_nop 0                                                    // 0000000038E4: BF800000
	v_cndmask_b32_e64 v121, v66, v121, s[40:41]                // 0000000038E8: D1000079 00A2F342
	v_cmp_le_u32_e64 s[40:41], v242, v64                       // 0000000038F0: D0CB0028 000281F2
	v_add_u32_e32 v242, 64, v242                               // 0000000038F8: 69E5E4C0
	s_nop 0                                                    // 0000000038FC: BF800000
	v_cndmask_b32_e64 v122, v66, v122, s[40:41]                // 000000003900: D100007A 00A2F542
	v_cmp_le_u32_e64 s[40:41], v243, v64                       // 000000003908: D0CB0028 000281F3
	v_add_u32_e32 v243, 64, v243                               // 000000003910: 69E7E6C0
	s_nop 0                                                    // 000000003914: BF800000
	v_cndmask_b32_e64 v123, v66, v123, s[40:41]                // 000000003918: D100007B 00A2F742
	v_cmp_le_u32_e64 s[40:41], v240, v64                       // 000000003920: D0CB0028 000281F0
	v_add_u32_e32 v240, 64, v240                               // 000000003928: 69E1E0C0
	s_nop 0                                                    // 00000000392C: BF800000
	v_cndmask_b32_e64 v124, v66, v124, s[40:41]                // 000000003930: D100007C 00A2F942
	v_cmp_le_u32_e64 s[40:41], v241, v64                       // 000000003938: D0CB0028 000281F1
	v_add_u32_e32 v241, 64, v241                               // 000000003940: 69E3E2C0
	s_nop 0                                                    // 000000003944: BF800000
	v_cndmask_b32_e64 v125, v66, v125, s[40:41]                // 000000003948: D100007D 00A2FB42
	v_cmp_le_u32_e64 s[40:41], v242, v64                       // 000000003950: D0CB0028 000281F2
	v_add_u32_e32 v242, 64, v242                               // 000000003958: 69E5E4C0
	s_nop 0                                                    // 00000000395C: BF800000
	v_cndmask_b32_e64 v126, v66, v126, s[40:41]                // 000000003960: D100007E 00A2FD42
	v_cmp_le_u32_e64 s[40:41], v243, v64                       // 000000003968: D0CB0028 000281F3
	v_add_u32_e32 v243, 64, v243                               // 000000003970: 69E7E6C0
	s_nop 0                                                    // 000000003974: BF800000
	v_cndmask_b32_e64 v127, v66, v127, s[40:41]                // 000000003978: D100007F 00A2FF42

0000000000003980 <label_05E0>:
	s_add_u32 s90, s91, s90                                    // 000000003980: 805A5A5B
	v_mov_b32_e32 v48, v112                                    // 000000003984: 7E600370
	v_max3_f32 v48, v112, v113, v48                            // 000000003988: D1D30030 04C2E370
	v_max3_f32 v48, v114, v115, v48                            // 000000003990: D1D30030 04C2E772
	v_max3_f32 v48, v116, v117, v48                            // 000000003998: D1D30030 04C2EB74
	v_max3_f32 v48, v118, v119, v48                            // 0000000039A0: D1D30030 04C2EF76
	v_max3_f32 v48, v120, v121, v48                            // 0000000039A8: D1D30030 04C2F378
	v_max3_f32 v48, v122, v123, v48                            // 0000000039B0: D1D30030 04C2F77A
	v_max3_f32 v48, v124, v125, v48                            // 0000000039B8: D1D30030 04C2FB7C
	v_max3_f32 v48, v126, v127, v48                            // 0000000039C0: D1D30030 04C2FF7E
	ds_write_b32 v8, v48 offset:16896                          // 0000000039C8: D81A4200 00003008
	buffer_load_dwordx4 a[24:27], v25, s[16:19], 0 offen       // 0000000039D0: E05C1000 80841819
	v_mul_u32_u24_dpp v64, v16, v54 row_newbcast:1 row_mask:0xf bank_mask:0xf// 0000000039D8: 10806CFA FF015110
	v_mul_u32_u24_dpp v65, v16, v54 row_newbcast:5 row_mask:0xf bank_mask:0xf// 0000000039E0: 10826CFA FF015510
	v_mul_u32_u24_dpp v66, v16, v54 row_newbcast:9 row_mask:0xf bank_mask:0xf// 0000000039E8: 10846CFA FF015910
	v_mul_u32_u24_dpp v67, v16, v54 row_newbcast:13 row_mask:0xf bank_mask:0xf// 0000000039F0: 10866CFA FF015D10
	v_add_u32_e32 v30, v64, v6                                 // 0000000039F8: 683C0D40
	v_add_u32_e32 v31, v65, v6                                 // 0000000039FC: 683E0D41
	v_add_u32_e32 v32, v66, v6                                 // 000000003A00: 68400D42
	v_add_u32_e32 v33, v67, v6                                 // 000000003A04: 68420D43
	v_mul_f32_e32 v208, v49, v208                              // 000000003A08: 0BA1A131
	v_mul_f32_e32 v209, v49, v209                              // 000000003A0C: 0BA3A331
	v_mul_f32_e32 v210, v49, v210                              // 000000003A10: 0BA5A531
	v_mul_f32_e32 v211, v49, v211                              // 000000003A14: 0BA7A731
	v_mul_f32_e32 v212, v49, v212                              // 000000003A18: 0BA9A931
	v_mul_f32_e32 v213, v49, v213                              // 000000003A1C: 0BABAB31
	v_mul_f32_e32 v214, v49, v214                              // 000000003A20: 0BADAD31
	v_mul_f32_e32 v215, v49, v215                              // 000000003A24: 0BAFAF31
	s_waitcnt lgkmcnt(0)                                       // 000000003A28: BF8CC07F
	s_barrier                                                  // 000000003A2C: BF8A0000
	ds_read_b32 v64, v7 offset:16896                           // 000000003A30: D86C4200 40000007
	ds_read_b32 v65, v7 offset:16960                           // 000000003A38: D86C4240 41000007
	ds_read_b32 v66, v7 offset:17024                           // 000000003A40: D86C4280 42000007
	ds_read_b32 v67, v7 offset:17088                           // 000000003A48: D86C42C0 43000007
	ds_read_b32 v68, v7 offset:17152                           // 000000003A50: D86C4300 44000007
	ds_read_b32 v69, v7 offset:17216                           // 000000003A58: D86C4340 45000007
	ds_read_b32 v70, v7 offset:17280                           // 000000003A60: D86C4380 46000007
	ds_read_b32 v71, v7 offset:17344                           // 000000003A68: D86C43C0 47000007
	ds_read_b32 v72, v7 offset:17408                           // 000000003A70: D86C4400 48000007
	ds_read_b32 v73, v7 offset:17472                           // 000000003A78: D86C4440 49000007
	ds_read_b32 v74, v7 offset:17536                           // 000000003A80: D86C4480 4A000007
	ds_read_b32 v75, v7 offset:17600                           // 000000003A88: D86C44C0 4B000007
	ds_read_b32 v76, v7 offset:17664                           // 000000003A90: D86C4500 4C000007
	ds_read_b32 v77, v7 offset:17728                           // 000000003A98: D86C4540 4D000007
	ds_read_b32 v78, v7 offset:17792                           // 000000003AA0: D86C4580 4E000007
	ds_read_b32 v79, v7 offset:17856                           // 000000003AA8: D86C45C0 4F000007
	buffer_load_dwordx4 a[28:31], v25, s[16:19], 0 offen offset:1024// 000000003AB0: E05C1400 80841C19
	v_mul_f32_e32 v176, v44, v176                              // 000000003AB8: 0B61612C
	v_mul_f32_e32 v177, v44, v177                              // 000000003ABC: 0B63632C
	v_mul_f32_e32 v178, v44, v178                              // 000000003AC0: 0B65652C
	v_mul_f32_e32 v179, v44, v179                              // 000000003AC4: 0B67672C
	v_mul_f32_e32 v180, v44, v180                              // 000000003AC8: 0B69692C
	v_mul_f32_e32 v181, v44, v181                              // 000000003ACC: 0B6B6B2C
	v_mul_f32_e32 v182, v44, v182                              // 000000003AD0: 0B6D6D2C
	v_mul_f32_e32 v183, v44, v183                              // 000000003AD4: 0B6F6F2C
	s_waitcnt lgkmcnt(0)                                       // 000000003AD8: BF8CC07F
	v_max3_f32 v48, v64, v65, v48                              // 000000003ADC: D1D30030 04C28340
	v_max3_f32 v48, v66, v67, v48                              // 000000003AE4: D1D30030 04C28742
	v_max3_f32 v48, v68, v69, v48                              // 000000003AEC: D1D30030 04C28B44
	v_max3_f32 v48, v70, v71, v48                              // 000000003AF4: D1D30030 04C28F46
	v_max3_f32 v48, v72, v73, v48                              // 000000003AFC: D1D30030 04C29348
	v_max3_f32 v48, v74, v75, v48                              // 000000003B04: D1D30030 04C2974A
	v_max3_f32 v48, v76, v77, v48                              // 000000003B0C: D1D30030 04C29B4C
	v_max3_f32 v48, v78, v79, v48                              // 000000003B14: D1D30030 04C29F4E
	buffer_load_dwordx4 a[64:67], v30, s[20:23], 0 offen       // 000000003B1C: E05C1000 8085401E
	v_mov_b32_e32 v64, 0xff800000                              // 000000003B24: 7E8002FF FF800000
	v_cmp_eq_u32_e64 s[40:41], v64, v11                        // 000000003B2C: D0CA0028 00021740
	s_nop 1                                                    // 000000003B34: BF800001
	v_max_f32_e32 v15, v48, v11                                // 000000003B38: 161E1730
	v_mul_f32_e32 v53, s64, v15                                // 000000003B3C: 0A6A1E40
	v_fma_f32 v112, v112, s64, -v53                            // 000000003B40: D1CB0070 84D48170
	v_fma_f32 v113, v113, s64, -v53                            // 000000003B48: D1CB0071 84D48171
	v_fma_f32 v114, v114, s64, -v53                            // 000000003B50: D1CB0072 84D48172
	v_fma_f32 v115, v115, s64, -v53                            // 000000003B58: D1CB0073 84D48173
	v_fma_f32 v116, v116, s64, -v53                            // 000000003B60: D1CB0074 84D48174
	v_fma_f32 v117, v117, s64, -v53                            // 000000003B68: D1CB0075 84D48175
	v_fma_f32 v118, v118, s64, -v53                            // 000000003B70: D1CB0076 84D48176
	v_fma_f32 v119, v119, s64, -v53                            // 000000003B78: D1CB0077 84D48177
	v_fma_f32 v120, v120, s64, -v53                            // 000000003B80: D1CB0078 84D48178
	v_fma_f32 v121, v121, s64, -v53                            // 000000003B88: D1CB0079 84D48179
	v_fma_f32 v122, v122, s64, -v53                            // 000000003B90: D1CB007A 84D4817A
	v_fma_f32 v123, v123, s64, -v53                            // 000000003B98: D1CB007B 84D4817B
	v_fma_f32 v124, v124, s64, -v53                            // 000000003BA0: D1CB007C 84D4817C
	v_fma_f32 v125, v125, s64, -v53                            // 000000003BA8: D1CB007D 84D4817D
	v_fma_f32 v126, v126, s64, -v53                            // 000000003BB0: D1CB007E 84D4817E
	v_fma_f32 v127, v127, s64, -v53                            // 000000003BB8: D1CB007F 84D4817F
	buffer_load_dwordx4 a[68:71], v31, s[20:23], 0 offen       // 000000003BC0: E05C1000 8085441F
	v_exp_f32_e32 v112, v112                                   // 000000003BC8: 7EE04170
	v_exp_f32_e32 v113, v113                                   // 000000003BCC: 7EE24171
	v_exp_f32_e32 v114, v114                                   // 000000003BD0: 7EE44172
	v_exp_f32_e32 v115, v115                                   // 000000003BD4: 7EE64173
	v_exp_f32_e32 v116, v116                                   // 000000003BD8: 7EE84174
	v_exp_f32_e32 v117, v117                                   // 000000003BDC: 7EEA4175
	v_exp_f32_e32 v118, v118                                   // 000000003BE0: 7EEC4176
	v_exp_f32_e32 v119, v119                                   // 000000003BE4: 7EEE4177
	v_exp_f32_e32 v120, v120                                   // 000000003BE8: 7EF04178
	v_exp_f32_e32 v121, v121                                   // 000000003BEC: 7EF24179
	v_exp_f32_e32 v122, v122                                   // 000000003BF0: 7EF4417A
	v_exp_f32_e32 v123, v123                                   // 000000003BF4: 7EF6417B
	v_exp_f32_e32 v124, v124                                   // 000000003BF8: 7EF8417C
	v_exp_f32_e32 v125, v125                                   // 000000003BFC: 7EFA417D
	v_exp_f32_e32 v126, v126                                   // 000000003C00: 7EFC417E
	v_exp_f32_e32 v127, v127                                   // 000000003C04: 7EFE417F
	buffer_load_dwordx4 a[72:75], v32, s[20:23], 0 offen       // 000000003C08: E05C1000 80854820
	v_mul_f32_dpp v240, v252, v112 quad_perm:[0,0,0,0] row_mask:0xf bank_mask:0xf// 000000003C10: 0BE0E0FA FF0000FC
	v_mul_f32_dpp v241, v252, v113 quad_perm:[1,1,1,1] row_mask:0xf bank_mask:0xf// 000000003C18: 0BE2E2FA FF0055FC
	v_mul_f32_dpp v242, v252, v114 quad_perm:[2,2,2,2] row_mask:0xf bank_mask:0xf// 000000003C20: 0BE4E4FA FF00AAFC
	v_mul_f32_dpp v243, v252, v115 quad_perm:[3,3,3,3] row_mask:0xf bank_mask:0xf// 000000003C28: 0BE6E6FA FF00FFFC
	v_mul_f32_dpp v244, v253, v116 quad_perm:[0,0,0,0] row_mask:0xf bank_mask:0xf// 000000003C30: 0BE8E8FA FF0000FD
	v_mul_f32_dpp v245, v253, v117 quad_perm:[1,1,1,1] row_mask:0xf bank_mask:0xf// 000000003C38: 0BEAEAFA FF0055FD
	v_mul_f32_dpp v246, v253, v118 quad_perm:[2,2,2,2] row_mask:0xf bank_mask:0xf// 000000003C40: 0BECECFA FF00AAFD
	v_mul_f32_dpp v247, v253, v119 quad_perm:[3,3,3,3] row_mask:0xf bank_mask:0xf// 000000003C48: 0BEEEEFA FF00FFFD
	v_mul_f32_dpp v248, v254, v120 quad_perm:[0,0,0,0] row_mask:0xf bank_mask:0xf// 000000003C50: 0BF0F0FA FF0000FE
	v_mul_f32_dpp v249, v254, v121 quad_perm:[1,1,1,1] row_mask:0xf bank_mask:0xf// 000000003C58: 0BF2F2FA FF0055FE
	v_mul_f32_dpp v250, v254, v122 quad_perm:[2,2,2,2] row_mask:0xf bank_mask:0xf// 000000003C60: 0BF4F4FA FF00AAFE
	v_mul_f32_dpp v251, v254, v123 quad_perm:[3,3,3,3] row_mask:0xf bank_mask:0xf// 000000003C68: 0BF6F6FA FF00FFFE
	v_mul_f32_dpp v252, v255, v124 quad_perm:[0,0,0,0] row_mask:0xf bank_mask:0xf// 000000003C70: 0BF8F8FA FF0000FF
	v_mul_f32_dpp v253, v255, v125 quad_perm:[1,1,1,1] row_mask:0xf bank_mask:0xf// 000000003C78: 0BFAFAFA FF0055FF
	v_mul_f32_dpp v254, v255, v126 quad_perm:[2,2,2,2] row_mask:0xf bank_mask:0xf// 000000003C80: 0BFCFCFA FF00AAFF
	v_mul_f32_dpp v255, v255, v127 quad_perm:[3,3,3,3] row_mask:0xf bank_mask:0xf// 000000003C88: 0BFEFEFA FF00FFFF
	v_mov_b32_e32 v48, 0x358637bd                              // 000000003C90: 7E6002FF 358637BD
	v_max3_f32 v48, |v240|, |v241|, v48                        // 000000003C98: D1D30330 04C3E3F0
	v_max3_f32 v48, |v242|, |v243|, v48                        // 000000003CA0: D1D30330 04C3E7F2
	v_max3_f32 v48, |v244|, |v245|, v48                        // 000000003CA8: D1D30330 04C3EBF4
	v_max3_f32 v48, |v246|, |v247|, v48                        // 000000003CB0: D1D30330 04C3EFF6
	v_max3_f32 v48, |v248|, |v249|, v48                        // 000000003CB8: D1D30330 04C3F3F8
	v_max3_f32 v48, |v250|, |v251|, v48                        // 000000003CC0: D1D30330 04C3F7FA
	v_max3_f32 v48, |v252|, |v253|, v48                        // 000000003CC8: D1D30330 04C3FBFC
	v_max3_f32 v48, |v254|, |v255|, v48                        // 000000003CD0: D1D30330 04C3FFFE
	buffer_load_dwordx4 a[76:79], v33, s[20:23], 0 offen       // 000000003CD8: E05C1000 80854C21
	ds_write_b32 v8, v48 offset:20992                          // 000000003CE0: D81A5200 00003008
	v_sub_f32_e32 v49, v11, v15                                // 000000003CE8: 04621F0B
	v_cndmask_b32_e64 v49, v49, 0, s[40:41]                    // 000000003CEC: D1000031 00A10131
	v_mov_b32_e32 v11, v15                                     // 000000003CF4: 7E16030F
	v_mul_f32_e32 v49, s64, v49                                // 000000003CF8: 0A626240
	v_exp_f32_e32 v49, v49                                     // 000000003CFC: 7E624131
	s_waitcnt lgkmcnt(0)                                       // 000000003D00: BF8CC07F
	s_barrier                                                  // 000000003D04: BF8A0000
	ds_read_b32 v64, v7 offset:20992                           // 000000003D08: D86C5200 40000007
	ds_read_b32 v65, v7 offset:21056                           // 000000003D10: D86C5240 41000007
	ds_read_b32 v66, v7 offset:21120                           // 000000003D18: D86C5280 42000007
	ds_read_b32 v67, v7 offset:21184                           // 000000003D20: D86C52C0 43000007
	ds_read_b32 v68, v7 offset:21248                           // 000000003D28: D86C5300 44000007
	ds_read_b32 v69, v7 offset:21312                           // 000000003D30: D86C5340 45000007
	ds_read_b32 v70, v7 offset:21376                           // 000000003D38: D86C5380 46000007
	ds_read_b32 v71, v7 offset:21440                           // 000000003D40: D86C53C0 47000007
	ds_read_b32 v72, v7 offset:21504                           // 000000003D48: D86C5400 48000007
	ds_read_b32 v73, v7 offset:21568                           // 000000003D50: D86C5440 49000007
	ds_read_b32 v74, v7 offset:21632                           // 000000003D58: D86C5480 4A000007
	ds_read_b32 v75, v7 offset:21696                           // 000000003D60: D86C54C0 4B000007
	ds_read_b32 v76, v7 offset:21760                           // 000000003D68: D86C5500 4C000007
	ds_read_b32 v77, v7 offset:21824                           // 000000003D70: D86C5540 4D000007
	ds_read_b32 v78, v7 offset:21888                           // 000000003D78: D86C5580 4E000007
	ds_read_b32 v79, v7 offset:21952                           // 000000003D80: D86C55C0 4F000007
	v_mul_f32_e32 v38, v49, v38                                // 000000003D88: 0A4C4D31
	v_mov_b32_e32 v15, v112                                    // 000000003D8C: 7E1E0370
	v_add_f32_e32 v15, v113, v15                               // 000000003D90: 021E1F71
	v_add_f32_e32 v15, v114, v15                               // 000000003D94: 021E1F72
	v_add_f32_e32 v15, v115, v15                               // 000000003D98: 021E1F73
	v_add_f32_e32 v15, v116, v15                               // 000000003D9C: 021E1F74
	v_add_f32_e32 v15, v117, v15                               // 000000003DA0: 021E1F75
	v_add_f32_e32 v15, v118, v15                               // 000000003DA4: 021E1F76
	v_add_f32_e32 v15, v119, v15                               // 000000003DA8: 021E1F77
	v_add_f32_e32 v15, v120, v15                               // 000000003DAC: 021E1F78
	v_add_f32_e32 v15, v121, v15                               // 000000003DB0: 021E1F79
	v_add_f32_e32 v15, v122, v15                               // 000000003DB4: 021E1F7A
	v_add_f32_e32 v15, v123, v15                               // 000000003DB8: 021E1F7B
	v_add_f32_e32 v15, v124, v15                               // 000000003DBC: 021E1F7C
	v_add_f32_e32 v15, v125, v15                               // 000000003DC0: 021E1F7D
	v_add_f32_e32 v15, v126, v15                               // 000000003DC4: 021E1F7E
	v_add_f32_e32 v15, v127, v15                               // 000000003DC8: 021E1F7F
	v_add_f32_e32 v38, v15, v38                                // 000000003DCC: 024C4D0F
	s_waitcnt lgkmcnt(0)                                       // 000000003DD0: BF8CC07F
	v_max3_f32 v48, |v64|, |v65|, v48                          // 000000003DD4: D1D30330 04C28340
	v_max3_f32 v48, |v66|, |v67|, v48                          // 000000003DDC: D1D30330 04C28742
	v_max3_f32 v48, |v68|, |v69|, v48                          // 000000003DE4: D1D30330 04C28B44
	v_max3_f32 v48, |v70|, |v71|, v48                          // 000000003DEC: D1D30330 04C28F46
	v_max3_f32 v48, |v72|, |v73|, v48                          // 000000003DF4: D1D30330 04C29348
	v_max3_f32 v48, |v74|, |v75|, v48                          // 000000003DFC: D1D30330 04C2974A
	v_max3_f32 v48, |v76|, |v77|, v48                          // 000000003E04: D1D30330 04C29B4C
	v_max3_f32 v48, |v78|, |v79|, v48                          // 000000003E0C: D1D30330 04C29F4E
	s_nop 2                                                    // 000000003E14: BF800002
	v_rcp_f32_e32 v48, v48                                     // 000000003E18: 7E604530
	s_nop 1                                                    // 000000003E1C: BF800001
	v_mul_f32_e32 v48, 0x43e00000, v48                         // 000000003E20: 0A6060FF 43E00000
	v_mul_f32_e32 v112, v48, v240                              // 000000003E28: 0AE1E130
	v_mul_f32_e32 v113, v48, v241                              // 000000003E2C: 0AE3E330
	v_mul_f32_e32 v114, v48, v242                              // 000000003E30: 0AE5E530
	v_mul_f32_e32 v115, v48, v243                              // 000000003E34: 0AE7E730
	v_mul_f32_e32 v116, v48, v244                              // 000000003E38: 0AE9E930
	v_mul_f32_e32 v117, v48, v245                              // 000000003E3C: 0AEBEB30
	v_mul_f32_e32 v118, v48, v246                              // 000000003E40: 0AEDED30
	v_mul_f32_e32 v119, v48, v247                              // 000000003E44: 0AEFEF30
	v_mul_f32_e32 v120, v48, v248                              // 000000003E48: 0AF1F130
	v_mul_f32_e32 v121, v48, v249                              // 000000003E4C: 0AF3F330
	v_mul_f32_e32 v122, v48, v250                              // 000000003E50: 0AF5F530
	v_mul_f32_e32 v123, v48, v251                              // 000000003E54: 0AF7F730
	v_mul_f32_e32 v124, v48, v252                              // 000000003E58: 0AF9F930
	v_mul_f32_e32 v125, v48, v253                              // 000000003E5C: 0AFBFB30
	v_mul_f32_e32 v126, v48, v254                              // 000000003E60: 0AFDFD30
	v_mul_f32_e32 v127, v48, v255                              // 000000003E64: 0AFFFF30
	v_cvt_pk_fp8_f32 v112, v112, v113                          // 000000003E68: D2A20070 0002E370
	v_cvt_pk_fp8_f32 v112, v114, v115 op_sel:[0,0,1]           // 000000003E70: D2A24070 0002E772
	v_cvt_pk_fp8_f32 v113, v116, v117                          // 000000003E78: D2A20071 0002EB74
	v_cvt_pk_fp8_f32 v113, v118, v119 op_sel:[0,0,1]           // 000000003E80: D2A24071 0002EF76
	v_cvt_pk_fp8_f32 v114, v120, v121                          // 000000003E88: D2A20072 0002F378
	v_cvt_pk_fp8_f32 v114, v122, v123 op_sel:[0,0,1]           // 000000003E90: D2A24072 0002F77A
	v_cvt_pk_fp8_f32 v115, v124, v125                          // 000000003E98: D2A20073 0002FB7C
	v_cvt_pk_fp8_f32 v115, v126, v127 op_sel:[0,0,1]           // 000000003EA0: D2A24073 0002FF7E
	ds_write_b32 v10, v112 offset:25088                        // 000000003EA8: D81A6200 0000700A
	ds_write_b32 v10, v113 offset:26112                        // 000000003EB0: D81A6600 0000710A
	ds_write_b32 v10, v114 offset:27136                        // 000000003EB8: D81A6A00 0000720A
	ds_write_b32 v10, v115 offset:28160                        // 000000003EC0: D81A6E00 0000730A
	v_add_f32_e32 v208, v208, v176                             // 000000003EC8: 03A161D0
	v_add_f32_e32 v209, v209, v177                             // 000000003ECC: 03A363D1
	v_add_f32_e32 v210, v210, v178                             // 000000003ED0: 03A565D2
	v_add_f32_e32 v211, v211, v179                             // 000000003ED4: 03A767D3
	v_add_f32_e32 v212, v212, v180                             // 000000003ED8: 03A969D4
	v_add_f32_e32 v213, v213, v181                             // 000000003EDC: 03AB6BD5
	v_add_f32_e32 v214, v214, v182                             // 000000003EE0: 03AD6DD6
	v_add_f32_e32 v215, v215, v183                             // 000000003EE4: 03AF6FD7
	v_rcp_f32_e32 v44, v48                                     // 000000003EE8: 7E584530
	s_waitcnt lgkmcnt(0)                                       // 000000003EEC: BF8CC07F
	s_barrier                                                  // 000000003EF0: BF8A0000
	ds_read_b64 v[112:113], v9 offset:25088                    // 000000003EF4: D8EC6200 70000009
	ds_read_b64 v[114:115], v9 offset:25216                    // 000000003EFC: D8EC6280 72000009
	ds_read_b64 v[116:117], v9 offset:26112                    // 000000003F04: D8EC6600 74000009
	ds_read_b64 v[118:119], v9 offset:26240                    // 000000003F0C: D8EC6680 76000009
	ds_read_b64 v[120:121], v9 offset:27136                    // 000000003F14: D8EC6A00 78000009
	ds_read_b64 v[122:123], v9 offset:27264                    // 000000003F1C: D8EC6A80 7A000009
	ds_read_b64 v[124:125], v9 offset:28160                    // 000000003F24: D8EC6E00 7C000009
	ds_read_b64 v[126:127], v9 offset:28288                    // 000000003F2C: D8EC6E80 7E000009
	s_waitcnt vmcnt(15)                                        // 000000003F34: BF8C0F7F
	s_waitcnt lgkmcnt(7)                                       // 000000003F38: BF8CC77F
	v_mfma_f32_16x16x32_fp8_fp8 v[176:179], a[96:97], v[112:113], 0// 000000003F3C: D3F300B0 0A02E160
	s_waitcnt lgkmcnt(6)                                       // 000000003F44: BF8CC67F
	v_mfma_f32_16x16x32_fp8_fp8 v[176:179], a[98:99], v[114:115], v[176:179]// 000000003F48: D3F300B0 0EC2E562
	buffer_load_dwordx4 a[80:83], v30, s[20:23], 0 offen offset:1024// 000000003F50: E05C1400 8085501E
	s_waitcnt lgkmcnt(5)                                       // 000000003F58: BF8CC57F
	v_mfma_f32_16x16x32_fp8_fp8 v[176:179], a[100:101], v[116:117], v[176:179]// 000000003F5C: D3F300B0 0EC2E964
	s_waitcnt lgkmcnt(4)                                       // 000000003F64: BF8CC47F
	v_mfma_f32_16x16x32_fp8_fp8 v[176:179], a[102:103], v[118:119], v[176:179]// 000000003F68: D3F300B0 0EC2ED66
	s_waitcnt lgkmcnt(3)                                       // 000000003F70: BF8CC37F
	v_mfma_f32_16x16x32_fp8_fp8 v[176:179], a[104:105], v[120:121], v[176:179]// 000000003F74: D3F300B0 0EC2F168
	s_waitcnt lgkmcnt(2)                                       // 000000003F7C: BF8CC27F
	v_mfma_f32_16x16x32_fp8_fp8 v[176:179], a[106:107], v[122:123], v[176:179]// 000000003F80: D3F300B0 0EC2F56A
	buffer_load_dwordx4 a[84:87], v31, s[20:23], 0 offen offset:1024// 000000003F88: E05C1400 8085541F
	s_waitcnt lgkmcnt(1)                                       // 000000003F90: BF8CC17F
	v_mfma_f32_16x16x32_fp8_fp8 v[176:179], a[108:109], v[124:125], v[176:179]// 000000003F94: D3F300B0 0EC2F96C
	s_waitcnt lgkmcnt(0)                                       // 000000003F9C: BF8CC07F
	v_mfma_f32_16x16x32_fp8_fp8 v[176:179], a[110:111], v[126:127], v[176:179]// 000000003FA0: D3F300B0 0EC2FD6E
	v_mfma_f32_16x16x32_fp8_fp8 v[180:183], a[112:113], v[112:113], 0// 000000003FA8: D3F300B4 0A02E170
	v_mfma_f32_16x16x32_fp8_fp8 v[180:183], a[114:115], v[114:115], v[180:183]// 000000003FB0: D3F300B4 0ED2E572
	buffer_load_dwordx4 a[88:91], v32, s[20:23], 0 offen offset:1024// 000000003FB8: E05C1400 80855820
	v_mfma_f32_16x16x32_fp8_fp8 v[180:183], a[116:117], v[116:117], v[180:183]// 000000003FC0: D3F300B4 0ED2E974
	v_mfma_f32_16x16x32_fp8_fp8 v[180:183], a[118:119], v[118:119], v[180:183]// 000000003FC8: D3F300B4 0ED2ED76
	v_mfma_f32_16x16x32_fp8_fp8 v[180:183], a[120:121], v[120:121], v[180:183]// 000000003FD0: D3F300B4 0ED2F178
	v_mfma_f32_16x16x32_fp8_fp8 v[180:183], a[122:123], v[122:123], v[180:183]// 000000003FD8: D3F300B4 0ED2F57A
	buffer_load_dwordx4 a[92:95], v33, s[20:23], 0 offen offset:1024// 000000003FE0: E05C1400 80855C21
	v_mfma_f32_16x16x32_fp8_fp8 v[180:183], a[124:125], v[124:125], v[180:183]// 000000003FE8: D3F300B4 0ED2F97C
	s_lshr_b32 s57, s70, 4                                     // 000000003FF0: 8F398446
	s_add_u32 s57, 48, s57                                     // 000000003FF4: 803939B0
	v_mfma_f32_16x16x32_fp8_fp8 v[180:183], a[126:127], v[126:127], v[180:183]// 000000003FF8: D3F300B4 0ED2FD7E
	s_cmp_ge_u32 s57, s73                                      // 000000004000: BF094939
	s_cselect_b32 s56, 0, s56                                  // 000000004004: 85383880
	v_add_u32_e32 v1, s56, v1                                  // 000000004008: 68020238
	s_addk_i32 s70, 0x100                                      // 00000000400C: B7460100
	s_cmp_lt_i32 s70, s71                                      // 000000004010: BF044746
	s_cbranch_scc0 label_0787                                  // 000000004014: BF840001
	s_branch label_0202                                        // 000000004018: BF82FA7B

000000000000401c <label_0787>:
	s_nop 0                                                    // 00000000401C: BF800000
	s_nop 0                                                    // 000000004020: BF800000
	s_branch label_0D0F                                        // 000000004024: BF820585

0000000000004028 <label_078A>:
	s_waitcnt vmcnt(8) lgkmcnt(0)                              // 000000004028: BF8C0078
	v_mul_u32_u24_dpp v64, v17, v54 row_newbcast:0 row_mask:0xf bank_mask:0xf// 00000000402C: 10806CFA FF015011
	v_mul_u32_u24_dpp v65, v17, v54 row_newbcast:4 row_mask:0xf bank_mask:0xf// 000000004034: 10826CFA FF015411
	v_mul_u32_u24_dpp v66, v17, v54 row_newbcast:8 row_mask:0xf bank_mask:0xf// 00000000403C: 10846CFA FF015811
	v_mul_u32_u24_dpp v67, v17, v54 row_newbcast:12 row_mask:0xf bank_mask:0xf// 000000004044: 10866CFA FF015C11
	v_add_u32_e32 v26, v64, v5                                 // 00000000404C: 68340B40
	v_add_u32_e32 v27, v65, v5                                 // 000000004050: 68360B41
	v_add_u32_e32 v28, v66, v5                                 // 000000004054: 68380B42
	v_add_u32_e32 v29, v67, v5                                 // 000000004058: 683A0B43
	v_mul_u32_u24_dpp v64, v17, v63 quad_perm:[0,0,0,0] row_mask:0xf bank_mask:0xf// 00000000405C: 10807EFA FF000011
	v_add_u32_e32 v3, v64, v59                                 // 000000004064: 68067740
	v_mul_u32_u24_dpp v64, v17, v63 quad_perm:[0,0,0,0] row_mask:0xf bank_mask:0xf// 000000004068: 10807EFA FF000011
	v_add_u32_e32 v56, v64, v60                                // 000000004070: 68707940
	v_mfma_f32_16x16x32_fp8_fp8 v[112:115], a[0:1], v[80:81], 0// 000000004074: D3F30070 0A02A100
	buffer_load_dwordx4 a[32:35], v26, s[16:19], 0 offen       // 00000000407C: E05C1000 8084201A
	v_mfma_f32_16x16x32_fp8_fp8 v[112:115], a[2:3], v[82:83], v[112:115]// 000000004084: D3F30070 0DC2A502
	v_mfma_f32_16x16x32_fp8_fp8 v[112:115], a[4:5], v[84:85], v[112:115]// 00000000408C: D3F30070 0DC2A904
	buffer_load_dword v16, v1, s[24:27], 0 offen               // 000000004094: E0501000 80061001
	v_mfma_f32_16x16x32_fp8_fp8 v[112:115], a[6:7], v[86:87], v[112:115]// 00000000409C: D3F30070 0DC2AD06
	v_mfma_f32_16x16x32_fp8_fp8 v[116:119], a[8:9], v[80:81], 0// 0000000040A4: D3F30074 0A02A108
	buffer_load_dwordx4 a[36:39], v26, s[16:19], 0 offen offset:1024// 0000000040AC: E05C1400 8084241A
	v_mfma_f32_16x16x32_fp8_fp8 v[116:119], a[10:11], v[82:83], v[116:119]// 0000000040B4: D3F30074 0DD2A50A
	v_mfma_f32_16x16x32_fp8_fp8 v[116:119], a[12:13], v[84:85], v[116:119]// 0000000040BC: D3F30074 0DD2A90C
	v_mfma_f32_16x16x32_fp8_fp8 v[116:119], a[14:15], v[86:87], v[116:119]// 0000000040C4: D3F30074 0DD2AD0E
	v_mfma_f32_16x16x32_fp8_fp8 v[120:123], a[16:17], v[80:81], 0// 0000000040CC: D3F30078 0A02A110
	buffer_load_dwordx4 a[40:43], v27, s[16:19], 0 offen       // 0000000040D4: E05C1000 8084281B
	v_mfma_f32_16x16x32_fp8_fp8 v[120:123], a[18:19], v[82:83], v[120:123]// 0000000040DC: D3F30078 0DE2A512
	v_mfma_f32_16x16x32_fp8_fp8 v[120:123], a[20:21], v[84:85], v[120:123]// 0000000040E4: D3F30078 0DE2A914
	v_mfma_f32_16x16x32_fp8_fp8 v[120:123], a[22:23], v[86:87], v[120:123]// 0000000040EC: D3F30078 0DE2AD16
	v_mfma_f32_16x16x32_fp8_fp8 v[124:127], a[24:25], v[80:81], 0// 0000000040F4: D3F3007C 0A02A118
	buffer_load_dwordx4 a[44:47], v27, s[16:19], 0 offen offset:1024// 0000000040FC: E05C1400 80842C1B
	v_mfma_f32_16x16x32_fp8_fp8 v[124:127], a[26:27], v[82:83], v[124:127]// 000000004104: D3F3007C 0DF2A51A
	v_mfma_f32_16x16x32_fp8_fp8 v[124:127], a[28:29], v[84:85], v[124:127]// 00000000410C: D3F3007C 0DF2A91C
	v_mfma_f32_16x16x32_fp8_fp8 v[124:127], a[30:31], v[86:87], v[124:127]// 000000004114: D3F3007C 0DF2AD1E
	buffer_load_dword v43, v3, s[32:35], 0 offen               // 00000000411C: E0501000 80082B03
	v_mov_b32_dpp v64, v42 row_shr:4 row_mask:0xf bank_mask:0xf// 000000004124: 7E8002FA FF01142A
	v_mov_b32_dpp v65, v42 row_shl:4 row_mask:0xf bank_mask:0xf// 00000000412C: 7E8202FA FF01042A
	v_cndmask_b32_e64 v248, v42, v64, s[44:45]                 // 000000004134: D10000F8 00B2812A
	v_cndmask_b32_e64 v249, v65, v42, s[44:45]                 // 00000000413C: D10000F9 00B25541
	v_mov_b32_dpp v64, v248 row_shr:8 row_mask:0xf bank_mask:0xf// 000000004144: 7E8002FA FF0118F8
	v_mov_b32_dpp v65, v248 row_shl:8 row_mask:0xf bank_mask:0xf// 00000000414C: 7E8202FA FF0108F8
	v_mov_b32_dpp v66, v249 row_shr:8 row_mask:0xf bank_mask:0xf// 000000004154: 7E8402FA FF0118F9
	v_mov_b32_dpp v67, v249 row_shl:8 row_mask:0xf bank_mask:0xf// 00000000415C: 7E8602FA FF0108F9
	v_mov_b32_e32 v68, v248                                    // 000000004164: 7E8803F8
	v_mov_b32_e32 v69, v249                                    // 000000004168: 7E8A03F9
	v_cndmask_b32_e64 v248, v68, v64, s[42:43]                 // 00000000416C: D10000F8 00AA8144
	v_cndmask_b32_e64 v250, v68, v65, s[78:79]                 // 000000004174: D10000FA 013A8344
	v_cndmask_b32_e64 v249, v69, v66, s[42:43]                 // 00000000417C: D10000F9 00AA8545
	v_cndmask_b32_e64 v251, v69, v67, s[78:79]                 // 000000004184: D10000FB 013A8745
	v_mov_b32_dpp v64, v57 row_shr:4 row_mask:0xf bank_mask:0xf// 00000000418C: 7E8002FA FF011439
	v_mov_b32_dpp v65, v57 row_shl:4 row_mask:0xf bank_mask:0xf// 000000004194: 7E8202FA FF010439
	v_cndmask_b32_e64 v252, v57, v64, s[44:45]                 // 00000000419C: D10000FC 00B28139
	v_cndmask_b32_e64 v253, v65, v57, s[44:45]                 // 0000000041A4: D10000FD 00B27341
	v_mov_b32_dpp v64, v252 row_shr:8 row_mask:0xf bank_mask:0xf// 0000000041AC: 7E8002FA FF0118FC
	v_mov_b32_dpp v65, v252 row_shl:8 row_mask:0xf bank_mask:0xf// 0000000041B4: 7E8202FA FF0108FC
	v_mov_b32_dpp v66, v253 row_shr:8 row_mask:0xf bank_mask:0xf// 0000000041BC: 7E8402FA FF0118FD
	v_mov_b32_dpp v67, v253 row_shl:8 row_mask:0xf bank_mask:0xf// 0000000041C4: 7E8602FA FF0108FD
	v_mov_b32_e32 v68, v252                                    // 0000000041CC: 7E8803FC
	v_mov_b32_e32 v69, v253                                    // 0000000041D0: 7E8A03FD
	v_cndmask_b32_e64 v252, v68, v64, s[42:43]                 // 0000000041D4: D10000FC 00AA8144
	v_cndmask_b32_e64 v254, v68, v65, s[78:79]                 // 0000000041DC: D10000FE 013A8344
	v_cndmask_b32_e64 v253, v69, v66, s[42:43]                 // 0000000041E4: D10000FD 00AA8545
	v_cndmask_b32_e64 v255, v69, v67, s[78:79]                 // 0000000041EC: D10000FF 013A8745
	buffer_load_dword v58, v56, s[36:39], 0 offen              // 0000000041F4: E0501000 80093A38
	v_mul_f32_e32 v112, v18, v112                              // 0000000041FC: 0AE0E112
	v_mul_f32_e32 v113, v18, v113                              // 000000004200: 0AE2E312
	v_mul_f32_e32 v114, v18, v114                              // 000000004204: 0AE4E512
	v_mul_f32_e32 v115, v18, v115                              // 000000004208: 0AE6E712
	v_mul_f32_e32 v116, v18, v116                              // 00000000420C: 0AE8E912
	v_mul_f32_e32 v117, v18, v117                              // 000000004210: 0AEAEB12
	v_mul_f32_e32 v118, v18, v118                              // 000000004214: 0AECED12
	v_mul_f32_e32 v119, v18, v119                              // 000000004218: 0AEEEF12
	v_mul_f32_e32 v120, v18, v120                              // 00000000421C: 0AF0F112
	v_mul_f32_e32 v121, v18, v121                              // 000000004220: 0AF2F312
	v_mul_f32_e32 v122, v18, v122                              // 000000004224: 0AF4F512
	v_mul_f32_e32 v123, v18, v123                              // 000000004228: 0AF6F712
	v_mul_f32_e32 v124, v18, v124                              // 00000000422C: 0AF8F912
	v_mul_f32_e32 v125, v18, v125                              // 000000004230: 0AFAFB12
	v_mul_f32_e32 v126, v18, v126                              // 000000004234: 0AFCFD12
	v_mul_f32_e32 v127, v18, v127                              // 000000004238: 0AFEFF12
	buffer_load_dwordx4 a[48:51], v28, s[16:19], 0 offen       // 00000000423C: E05C1000 8084301C
	v_mul_f32_dpp v112, v248, v112 quad_perm:[0,0,0,0] row_mask:0xf bank_mask:0xf// 000000004244: 0AE0E0FA FF0000F8
	v_mul_f32_dpp v113, v248, v113 quad_perm:[1,1,1,1] row_mask:0xf bank_mask:0xf// 00000000424C: 0AE2E2FA FF0055F8
	v_mul_f32_dpp v114, v248, v114 quad_perm:[2,2,2,2] row_mask:0xf bank_mask:0xf// 000000004254: 0AE4E4FA FF00AAF8
	v_mul_f32_dpp v115, v248, v115 quad_perm:[3,3,3,3] row_mask:0xf bank_mask:0xf// 00000000425C: 0AE6E6FA FF00FFF8
	v_mul_f32_dpp v116, v249, v116 quad_perm:[0,0,0,0] row_mask:0xf bank_mask:0xf// 000000004264: 0AE8E8FA FF0000F9
	v_mul_f32_dpp v117, v249, v117 quad_perm:[1,1,1,1] row_mask:0xf bank_mask:0xf// 00000000426C: 0AEAEAFA FF0055F9
	v_mul_f32_dpp v118, v249, v118 quad_perm:[2,2,2,2] row_mask:0xf bank_mask:0xf// 000000004274: 0AECECFA FF00AAF9
	v_mul_f32_dpp v119, v249, v119 quad_perm:[3,3,3,3] row_mask:0xf bank_mask:0xf// 00000000427C: 0AEEEEFA FF00FFF9
	v_mul_f32_dpp v120, v250, v120 quad_perm:[0,0,0,0] row_mask:0xf bank_mask:0xf// 000000004284: 0AF0F0FA FF0000FA
	v_mul_f32_dpp v121, v250, v121 quad_perm:[1,1,1,1] row_mask:0xf bank_mask:0xf// 00000000428C: 0AF2F2FA FF0055FA
	v_mul_f32_dpp v122, v250, v122 quad_perm:[2,2,2,2] row_mask:0xf bank_mask:0xf// 000000004294: 0AF4F4FA FF00AAFA
	v_mul_f32_dpp v123, v250, v123 quad_perm:[3,3,3,3] row_mask:0xf bank_mask:0xf// 00000000429C: 0AF6F6FA FF00FFFA
	v_mul_f32_dpp v124, v251, v124 quad_perm:[0,0,0,0] row_mask:0xf bank_mask:0xf// 0000000042A4: 0AF8F8FA FF0000FB
	v_mul_f32_dpp v125, v251, v125 quad_perm:[1,1,1,1] row_mask:0xf bank_mask:0xf// 0000000042AC: 0AFAFAFA FF0055FB
	v_mul_f32_dpp v126, v251, v126 quad_perm:[2,2,2,2] row_mask:0xf bank_mask:0xf// 0000000042B4: 0AFCFCFA FF00AAFB
	v_mul_f32_dpp v127, v251, v127 quad_perm:[3,3,3,3] row_mask:0xf bank_mask:0xf// 0000000042BC: 0AFEFEFA FF00FFFB
	buffer_load_dwordx4 a[52:55], v28, s[16:19], 0 offen offset:1024// 0000000042C4: E05C1400 8084341C
	s_cmp_le_i32 s90, s89                                      // 0000000042CC: BF05595A
	s_cbranch_scc1 label_08A6                                  // 0000000042D0: BF850071
	v_mov_b32_e32 v66, 0xff800000                              // 0000000042D4: 7E8402FF FF800000
	s_mov_b32 s60, s90                                         // 0000000042DC: BEBC005A
	s_add_u32 s61, s89, 0xff                                   // 0000000042E0: 803DFF59 000000FF
	v_mov_b32_e32 v64, s61                                     // 0000000042E8: 7E80023D
	v_lshrrev_b32_e32 v240, 4, v0                              // 0000000042EC: 21E00084
	v_mul_i32_i24_e32 v240, 4, v240                            // 0000000042F0: 0DE1E084
	v_add_u32_e32 v240, s60, v240                              // 0000000042F4: 69E1E03C
	s_mov_b32 s61, 0                                           // 0000000042F8: BEBD0080
	s_mul_i32 s60, 16, s7                                      // 0000000042FC: 923C0790
	v_sub_u32_e64 v240, v240, s61                              // 000000004300: D13500F0 00007BF0
	v_add_u32_e32 v240, s60, v240                              // 000000004308: 69E1E03C
	v_add_u32_e32 v241, 1, v240                                // 00000000430C: 69E3E081
	v_add_u32_e32 v242, 2, v240                                // 000000004310: 69E5E082
	v_add_u32_e32 v243, 3, v240                                // 000000004314: 69E7E083
	v_cmp_le_u32_e64 s[40:41], v240, v64                       // 000000004318: D0CB0028 000281F0
	v_add_u32_e32 v240, 64, v240                               // 000000004320: 69E1E0C0
	s_nop 0                                                    // 000000004324: BF800000
	v_cndmask_b32_e64 v112, v66, v112, s[40:41]                // 000000004328: D1000070 00A2E142
	v_cmp_le_u32_e64 s[40:41], v241, v64                       // 000000004330: D0CB0028 000281F1
	v_add_u32_e32 v241, 64, v241                               // 000000004338: 69E3E2C0
	s_nop 0                                                    // 00000000433C: BF800000
	v_cndmask_b32_e64 v113, v66, v113, s[40:41]                // 000000004340: D1000071 00A2E342
	v_cmp_le_u32_e64 s[40:41], v242, v64                       // 000000004348: D0CB0028 000281F2
	v_add_u32_e32 v242, 64, v242                               // 000000004350: 69E5E4C0
	s_nop 0                                                    // 000000004354: BF800000
	v_cndmask_b32_e64 v114, v66, v114, s[40:41]                // 000000004358: D1000072 00A2E542
	v_cmp_le_u32_e64 s[40:41], v243, v64                       // 000000004360: D0CB0028 000281F3
	v_add_u32_e32 v243, 64, v243                               // 000000004368: 69E7E6C0
	s_nop 0                                                    // 00000000436C: BF800000
	v_cndmask_b32_e64 v115, v66, v115, s[40:41]                // 000000004370: D1000073 00A2E742
	v_cmp_le_u32_e64 s[40:41], v240, v64                       // 000000004378: D0CB0028 000281F0
	v_add_u32_e32 v240, 64, v240                               // 000000004380: 69E1E0C0
	s_nop 0                                                    // 000000004384: BF800000
	v_cndmask_b32_e64 v116, v66, v116, s[40:41]                // 000000004388: D1000074 00A2E942
	v_cmp_le_u32_e64 s[40:41], v241, v64                       // 000000004390: D0CB0028 000281F1
	v_add_u32_e32 v241, 64, v241                               // 000000004398: 69E3E2C0
	s_nop 0                                                    // 00000000439C: BF800000
	v_cndmask_b32_e64 v117, v66, v117, s[40:41]                // 0000000043A0: D1000075 00A2EB42
	v_cmp_le_u32_e64 s[40:41], v242, v64                       // 0000000043A8: D0CB0028 000281F2
	v_add_u32_e32 v242, 64, v242                               // 0000000043B0: 69E5E4C0
	s_nop 0                                                    // 0000000043B4: BF800000
	v_cndmask_b32_e64 v118, v66, v118, s[40:41]                // 0000000043B8: D1000076 00A2ED42
	v_cmp_le_u32_e64 s[40:41], v243, v64                       // 0000000043C0: D0CB0028 000281F3
	v_add_u32_e32 v243, 64, v243                               // 0000000043C8: 69E7E6C0
	s_nop 0                                                    // 0000000043CC: BF800000
	v_cndmask_b32_e64 v119, v66, v119, s[40:41]                // 0000000043D0: D1000077 00A2EF42
	v_cmp_le_u32_e64 s[40:41], v240, v64                       // 0000000043D8: D0CB0028 000281F0
	v_add_u32_e32 v240, 64, v240                               // 0000000043E0: 69E1E0C0
	s_nop 0                                                    // 0000000043E4: BF800000
	v_cndmask_b32_e64 v120, v66, v120, s[40:41]                // 0000000043E8: D1000078 00A2F142
	v_cmp_le_u32_e64 s[40:41], v241, v64                       // 0000000043F0: D0CB0028 000281F1
	v_add_u32_e32 v241, 64, v241                               // 0000000043F8: 69E3E2C0
	s_nop 0                                                    // 0000000043FC: BF800000
	v_cndmask_b32_e64 v121, v66, v121, s[40:41]                // 000000004400: D1000079 00A2F342
	v_cmp_le_u32_e64 s[40:41], v242, v64                       // 000000004408: D0CB0028 000281F2
	v_add_u32_e32 v242, 64, v242                               // 000000004410: 69E5E4C0
	s_nop 0                                                    // 000000004414: BF800000
	v_cndmask_b32_e64 v122, v66, v122, s[40:41]                // 000000004418: D100007A 00A2F542
	v_cmp_le_u32_e64 s[40:41], v243, v64                       // 000000004420: D0CB0028 000281F3
	v_add_u32_e32 v243, 64, v243                               // 000000004428: 69E7E6C0
	s_nop 0                                                    // 00000000442C: BF800000
	v_cndmask_b32_e64 v123, v66, v123, s[40:41]                // 000000004430: D100007B 00A2F742
	v_cmp_le_u32_e64 s[40:41], v240, v64                       // 000000004438: D0CB0028 000281F0
	v_add_u32_e32 v240, 64, v240                               // 000000004440: 69E1E0C0
	s_nop 0                                                    // 000000004444: BF800000
	v_cndmask_b32_e64 v124, v66, v124, s[40:41]                // 000000004448: D100007C 00A2F942
	v_cmp_le_u32_e64 s[40:41], v241, v64                       // 000000004450: D0CB0028 000281F1
	v_add_u32_e32 v241, 64, v241                               // 000000004458: 69E3E2C0
	s_nop 0                                                    // 00000000445C: BF800000
	v_cndmask_b32_e64 v125, v66, v125, s[40:41]                // 000000004460: D100007D 00A2FB42
	v_cmp_le_u32_e64 s[40:41], v242, v64                       // 000000004468: D0CB0028 000281F2
	v_add_u32_e32 v242, 64, v242                               // 000000004470: 69E5E4C0
	s_nop 0                                                    // 000000004474: BF800000
	v_cndmask_b32_e64 v126, v66, v126, s[40:41]                // 000000004478: D100007E 00A2FD42
	v_cmp_le_u32_e64 s[40:41], v243, v64                       // 000000004480: D0CB0028 000281F3
	v_add_u32_e32 v243, 64, v243                               // 000000004488: 69E7E6C0
	s_nop 0                                                    // 00000000448C: BF800000
	v_cndmask_b32_e64 v127, v66, v127, s[40:41]                // 000000004490: D100007F 00A2FF42

0000000000004498 <label_08A6>:
	s_add_u32 s90, s91, s90                                    // 000000004498: 805A5A5B
	v_mov_b32_e32 v48, v112                                    // 00000000449C: 7E600370
	v_max3_f32 v48, v112, v113, v48                            // 0000000044A0: D1D30030 04C2E370
	v_max3_f32 v48, v114, v115, v48                            // 0000000044A8: D1D30030 04C2E772
	v_max3_f32 v48, v116, v117, v48                            // 0000000044B0: D1D30030 04C2EB74
	v_max3_f32 v48, v118, v119, v48                            // 0000000044B8: D1D30030 04C2EF76
	v_max3_f32 v48, v120, v121, v48                            // 0000000044C0: D1D30030 04C2F378
	v_max3_f32 v48, v122, v123, v48                            // 0000000044C8: D1D30030 04C2F77A
	v_max3_f32 v48, v124, v125, v48                            // 0000000044D0: D1D30030 04C2FB7C
	v_max3_f32 v48, v126, v127, v48                            // 0000000044D8: D1D30030 04C2FF7E
	ds_write_b32 v8, v48 offset:16896                          // 0000000044E0: D81A4200 00003008
	buffer_load_dwordx4 a[56:59], v29, s[16:19], 0 offen       // 0000000044E8: E05C1000 8084381D
	v_mul_u32_u24_dpp v64, v17, v54 row_newbcast:1 row_mask:0xf bank_mask:0xf// 0000000044F0: 10806CFA FF015111
	v_mul_u32_u24_dpp v65, v17, v54 row_newbcast:5 row_mask:0xf bank_mask:0xf// 0000000044F8: 10826CFA FF015511
	v_mul_u32_u24_dpp v66, v17, v54 row_newbcast:9 row_mask:0xf bank_mask:0xf// 000000004500: 10846CFA FF015911
	v_mul_u32_u24_dpp v67, v17, v54 row_newbcast:13 row_mask:0xf bank_mask:0xf// 000000004508: 10866CFA FF015D11
	v_add_u32_e32 v34, v64, v6                                 // 000000004510: 68440D40
	v_add_u32_e32 v35, v65, v6                                 // 000000004514: 68460D41
	v_add_u32_e32 v36, v66, v6                                 // 000000004518: 68480D42
	v_add_u32_e32 v37, v67, v6                                 // 00000000451C: 684A0D43
	v_mul_f32_e32 v208, v49, v208                              // 000000004520: 0BA1A131
	v_mul_f32_e32 v209, v49, v209                              // 000000004524: 0BA3A331
	v_mul_f32_e32 v210, v49, v210                              // 000000004528: 0BA5A531
	v_mul_f32_e32 v211, v49, v211                              // 00000000452C: 0BA7A731
	v_mul_f32_e32 v212, v49, v212                              // 000000004530: 0BA9A931
	v_mul_f32_e32 v213, v49, v213                              // 000000004534: 0BABAB31
	v_mul_f32_e32 v214, v49, v214                              // 000000004538: 0BADAD31
	v_mul_f32_e32 v215, v49, v215                              // 00000000453C: 0BAFAF31
	s_waitcnt lgkmcnt(0)                                       // 000000004540: BF8CC07F
	s_barrier                                                  // 000000004544: BF8A0000
	ds_read_b32 v64, v7 offset:16896                           // 000000004548: D86C4200 40000007
	ds_read_b32 v65, v7 offset:16960                           // 000000004550: D86C4240 41000007
	ds_read_b32 v66, v7 offset:17024                           // 000000004558: D86C4280 42000007
	ds_read_b32 v67, v7 offset:17088                           // 000000004560: D86C42C0 43000007
	ds_read_b32 v68, v7 offset:17152                           // 000000004568: D86C4300 44000007
	ds_read_b32 v69, v7 offset:17216                           // 000000004570: D86C4340 45000007
	ds_read_b32 v70, v7 offset:17280                           // 000000004578: D86C4380 46000007
	ds_read_b32 v71, v7 offset:17344                           // 000000004580: D86C43C0 47000007
	ds_read_b32 v72, v7 offset:17408                           // 000000004588: D86C4400 48000007
	ds_read_b32 v73, v7 offset:17472                           // 000000004590: D86C4440 49000007
	ds_read_b32 v74, v7 offset:17536                           // 000000004598: D86C4480 4A000007
	ds_read_b32 v75, v7 offset:17600                           // 0000000045A0: D86C44C0 4B000007
	ds_read_b32 v76, v7 offset:17664                           // 0000000045A8: D86C4500 4C000007
	ds_read_b32 v77, v7 offset:17728                           // 0000000045B0: D86C4540 4D000007
	ds_read_b32 v78, v7 offset:17792                           // 0000000045B8: D86C4580 4E000007
	ds_read_b32 v79, v7 offset:17856                           // 0000000045C0: D86C45C0 4F000007
	buffer_load_dwordx4 a[60:63], v29, s[16:19], 0 offen offset:1024// 0000000045C8: E05C1400 80843C1D
	v_mul_f32_e32 v176, v44, v176                              // 0000000045D0: 0B61612C
	v_mul_f32_e32 v177, v44, v177                              // 0000000045D4: 0B63632C
	v_mul_f32_e32 v178, v44, v178                              // 0000000045D8: 0B65652C
	v_mul_f32_e32 v179, v44, v179                              // 0000000045DC: 0B67672C
	v_mul_f32_e32 v180, v44, v180                              // 0000000045E0: 0B69692C
	v_mul_f32_e32 v181, v44, v181                              // 0000000045E4: 0B6B6B2C
	v_mul_f32_e32 v182, v44, v182                              // 0000000045E8: 0B6D6D2C
	v_mul_f32_e32 v183, v44, v183                              // 0000000045EC: 0B6F6F2C
	s_waitcnt lgkmcnt(0)                                       // 0000000045F0: BF8CC07F
	v_max3_f32 v48, v64, v65, v48                              // 0000000045F4: D1D30030 04C28340
	v_max3_f32 v48, v66, v67, v48                              // 0000000045FC: D1D30030 04C28742
	v_max3_f32 v48, v68, v69, v48                              // 000000004604: D1D30030 04C28B44
	v_max3_f32 v48, v70, v71, v48                              // 00000000460C: D1D30030 04C28F46
	v_max3_f32 v48, v72, v73, v48                              // 000000004614: D1D30030 04C29348
	v_max3_f32 v48, v74, v75, v48                              // 00000000461C: D1D30030 04C2974A
	v_max3_f32 v48, v76, v77, v48                              // 000000004624: D1D30030 04C29B4C
	v_max3_f32 v48, v78, v79, v48                              // 00000000462C: D1D30030 04C29F4E
	buffer_load_dwordx4 a[96:99], v34, s[20:23], 0 offen       // 000000004634: E05C1000 80856022
	v_mov_b32_e32 v64, 0xff800000                              // 00000000463C: 7E8002FF FF800000
	v_cmp_eq_u32_e64 s[40:41], v64, v11                        // 000000004644: D0CA0028 00021740
	s_nop 1                                                    // 00000000464C: BF800001
	v_max_f32_e32 v15, v48, v11                                // 000000004650: 161E1730
	v_mul_f32_e32 v53, s64, v15                                // 000000004654: 0A6A1E40
	v_fma_f32 v112, v112, s64, -v53                            // 000000004658: D1CB0070 84D48170
	v_fma_f32 v113, v113, s64, -v53                            // 000000004660: D1CB0071 84D48171
	v_fma_f32 v114, v114, s64, -v53                            // 000000004668: D1CB0072 84D48172
	v_fma_f32 v115, v115, s64, -v53                            // 000000004670: D1CB0073 84D48173
	v_fma_f32 v116, v116, s64, -v53                            // 000000004678: D1CB0074 84D48174
	v_fma_f32 v117, v117, s64, -v53                            // 000000004680: D1CB0075 84D48175
	v_fma_f32 v118, v118, s64, -v53                            // 000000004688: D1CB0076 84D48176
	v_fma_f32 v119, v119, s64, -v53                            // 000000004690: D1CB0077 84D48177
	v_fma_f32 v120, v120, s64, -v53                            // 000000004698: D1CB0078 84D48178
	v_fma_f32 v121, v121, s64, -v53                            // 0000000046A0: D1CB0079 84D48179
	v_fma_f32 v122, v122, s64, -v53                            // 0000000046A8: D1CB007A 84D4817A
	v_fma_f32 v123, v123, s64, -v53                            // 0000000046B0: D1CB007B 84D4817B
	v_fma_f32 v124, v124, s64, -v53                            // 0000000046B8: D1CB007C 84D4817C
	v_fma_f32 v125, v125, s64, -v53                            // 0000000046C0: D1CB007D 84D4817D
	v_fma_f32 v126, v126, s64, -v53                            // 0000000046C8: D1CB007E 84D4817E
	v_fma_f32 v127, v127, s64, -v53                            // 0000000046D0: D1CB007F 84D4817F
	buffer_load_dwordx4 a[100:103], v35, s[20:23], 0 offen     // 0000000046D8: E05C1000 80856423
	v_exp_f32_e32 v112, v112                                   // 0000000046E0: 7EE04170
	v_exp_f32_e32 v113, v113                                   // 0000000046E4: 7EE24171
	v_exp_f32_e32 v114, v114                                   // 0000000046E8: 7EE44172
	v_exp_f32_e32 v115, v115                                   // 0000000046EC: 7EE64173
	v_exp_f32_e32 v116, v116                                   // 0000000046F0: 7EE84174
	v_exp_f32_e32 v117, v117                                   // 0000000046F4: 7EEA4175
	v_exp_f32_e32 v118, v118                                   // 0000000046F8: 7EEC4176
	v_exp_f32_e32 v119, v119                                   // 0000000046FC: 7EEE4177
	v_exp_f32_e32 v120, v120                                   // 000000004700: 7EF04178
	v_exp_f32_e32 v121, v121                                   // 000000004704: 7EF24179
	v_exp_f32_e32 v122, v122                                   // 000000004708: 7EF4417A
	v_exp_f32_e32 v123, v123                                   // 00000000470C: 7EF6417B
	v_exp_f32_e32 v124, v124                                   // 000000004710: 7EF8417C
	v_exp_f32_e32 v125, v125                                   // 000000004714: 7EFA417D
	v_exp_f32_e32 v126, v126                                   // 000000004718: 7EFC417E
	v_exp_f32_e32 v127, v127                                   // 00000000471C: 7EFE417F
	buffer_load_dwordx4 a[104:107], v36, s[20:23], 0 offen     // 000000004720: E05C1000 80856824
	v_mul_f32_dpp v240, v252, v112 quad_perm:[0,0,0,0] row_mask:0xf bank_mask:0xf// 000000004728: 0BE0E0FA FF0000FC
	v_mul_f32_dpp v241, v252, v113 quad_perm:[1,1,1,1] row_mask:0xf bank_mask:0xf// 000000004730: 0BE2E2FA FF0055FC
	v_mul_f32_dpp v242, v252, v114 quad_perm:[2,2,2,2] row_mask:0xf bank_mask:0xf// 000000004738: 0BE4E4FA FF00AAFC
	v_mul_f32_dpp v243, v252, v115 quad_perm:[3,3,3,3] row_mask:0xf bank_mask:0xf// 000000004740: 0BE6E6FA FF00FFFC
	v_mul_f32_dpp v244, v253, v116 quad_perm:[0,0,0,0] row_mask:0xf bank_mask:0xf// 000000004748: 0BE8E8FA FF0000FD
	v_mul_f32_dpp v245, v253, v117 quad_perm:[1,1,1,1] row_mask:0xf bank_mask:0xf// 000000004750: 0BEAEAFA FF0055FD
	v_mul_f32_dpp v246, v253, v118 quad_perm:[2,2,2,2] row_mask:0xf bank_mask:0xf// 000000004758: 0BECECFA FF00AAFD
	v_mul_f32_dpp v247, v253, v119 quad_perm:[3,3,3,3] row_mask:0xf bank_mask:0xf// 000000004760: 0BEEEEFA FF00FFFD
	v_mul_f32_dpp v248, v254, v120 quad_perm:[0,0,0,0] row_mask:0xf bank_mask:0xf// 000000004768: 0BF0F0FA FF0000FE
	v_mul_f32_dpp v249, v254, v121 quad_perm:[1,1,1,1] row_mask:0xf bank_mask:0xf// 000000004770: 0BF2F2FA FF0055FE
	v_mul_f32_dpp v250, v254, v122 quad_perm:[2,2,2,2] row_mask:0xf bank_mask:0xf// 000000004778: 0BF4F4FA FF00AAFE
	v_mul_f32_dpp v251, v254, v123 quad_perm:[3,3,3,3] row_mask:0xf bank_mask:0xf// 000000004780: 0BF6F6FA FF00FFFE
	v_mul_f32_dpp v252, v255, v124 quad_perm:[0,0,0,0] row_mask:0xf bank_mask:0xf// 000000004788: 0BF8F8FA FF0000FF
	v_mul_f32_dpp v253, v255, v125 quad_perm:[1,1,1,1] row_mask:0xf bank_mask:0xf// 000000004790: 0BFAFAFA FF0055FF
	v_mul_f32_dpp v254, v255, v126 quad_perm:[2,2,2,2] row_mask:0xf bank_mask:0xf// 000000004798: 0BFCFCFA FF00AAFF
	v_mul_f32_dpp v255, v255, v127 quad_perm:[3,3,3,3] row_mask:0xf bank_mask:0xf// 0000000047A0: 0BFEFEFA FF00FFFF
	v_mov_b32_e32 v48, 0x358637bd                              // 0000000047A8: 7E6002FF 358637BD
	v_max3_f32 v48, |v240|, |v241|, v48                        // 0000000047B0: D1D30330 04C3E3F0
	v_max3_f32 v48, |v242|, |v243|, v48                        // 0000000047B8: D1D30330 04C3E7F2
	v_max3_f32 v48, |v244|, |v245|, v48                        // 0000000047C0: D1D30330 04C3EBF4
	v_max3_f32 v48, |v246|, |v247|, v48                        // 0000000047C8: D1D30330 04C3EFF6
	v_max3_f32 v48, |v248|, |v249|, v48                        // 0000000047D0: D1D30330 04C3F3F8
	v_max3_f32 v48, |v250|, |v251|, v48                        // 0000000047D8: D1D30330 04C3F7FA
	v_max3_f32 v48, |v252|, |v253|, v48                        // 0000000047E0: D1D30330 04C3FBFC
	v_max3_f32 v48, |v254|, |v255|, v48                        // 0000000047E8: D1D30330 04C3FFFE
	buffer_load_dwordx4 a[108:111], v37, s[20:23], 0 offen     // 0000000047F0: E05C1000 80856C25
	ds_write_b32 v8, v48 offset:20992                          // 0000000047F8: D81A5200 00003008
	v_sub_f32_e32 v49, v11, v15                                // 000000004800: 04621F0B
	v_cndmask_b32_e64 v49, v49, 0, s[40:41]                    // 000000004804: D1000031 00A10131
	v_mov_b32_e32 v11, v15                                     // 00000000480C: 7E16030F
	v_mul_f32_e32 v49, s64, v49                                // 000000004810: 0A626240
	v_exp_f32_e32 v49, v49                                     // 000000004814: 7E624131
	s_waitcnt lgkmcnt(0)                                       // 000000004818: BF8CC07F
	s_barrier                                                  // 00000000481C: BF8A0000
	ds_read_b32 v64, v7 offset:20992                           // 000000004820: D86C5200 40000007
	ds_read_b32 v65, v7 offset:21056                           // 000000004828: D86C5240 41000007
	ds_read_b32 v66, v7 offset:21120                           // 000000004830: D86C5280 42000007
	ds_read_b32 v67, v7 offset:21184                           // 000000004838: D86C52C0 43000007
	ds_read_b32 v68, v7 offset:21248                           // 000000004840: D86C5300 44000007
	ds_read_b32 v69, v7 offset:21312                           // 000000004848: D86C5340 45000007
	ds_read_b32 v70, v7 offset:21376                           // 000000004850: D86C5380 46000007
	ds_read_b32 v71, v7 offset:21440                           // 000000004858: D86C53C0 47000007
	ds_read_b32 v72, v7 offset:21504                           // 000000004860: D86C5400 48000007
	ds_read_b32 v73, v7 offset:21568                           // 000000004868: D86C5440 49000007
	ds_read_b32 v74, v7 offset:21632                           // 000000004870: D86C5480 4A000007
	ds_read_b32 v75, v7 offset:21696                           // 000000004878: D86C54C0 4B000007
	ds_read_b32 v76, v7 offset:21760                           // 000000004880: D86C5500 4C000007
	ds_read_b32 v77, v7 offset:21824                           // 000000004888: D86C5540 4D000007
	ds_read_b32 v78, v7 offset:21888                           // 000000004890: D86C5580 4E000007
	ds_read_b32 v79, v7 offset:21952                           // 000000004898: D86C55C0 4F000007
	v_mul_f32_e32 v38, v49, v38                                // 0000000048A0: 0A4C4D31
	v_mov_b32_e32 v15, v112                                    // 0000000048A4: 7E1E0370
	v_add_f32_e32 v15, v113, v15                               // 0000000048A8: 021E1F71
	v_add_f32_e32 v15, v114, v15                               // 0000000048AC: 021E1F72
	v_add_f32_e32 v15, v115, v15                               // 0000000048B0: 021E1F73
	v_add_f32_e32 v15, v116, v15                               // 0000000048B4: 021E1F74
	v_add_f32_e32 v15, v117, v15                               // 0000000048B8: 021E1F75
	v_add_f32_e32 v15, v118, v15                               // 0000000048BC: 021E1F76
	v_add_f32_e32 v15, v119, v15                               // 0000000048C0: 021E1F77
	v_add_f32_e32 v15, v120, v15                               // 0000000048C4: 021E1F78
	v_add_f32_e32 v15, v121, v15                               // 0000000048C8: 021E1F79
	v_add_f32_e32 v15, v122, v15                               // 0000000048CC: 021E1F7A
	v_add_f32_e32 v15, v123, v15                               // 0000000048D0: 021E1F7B
	v_add_f32_e32 v15, v124, v15                               // 0000000048D4: 021E1F7C
	v_add_f32_e32 v15, v125, v15                               // 0000000048D8: 021E1F7D
	v_add_f32_e32 v15, v126, v15                               // 0000000048DC: 021E1F7E
	v_add_f32_e32 v15, v127, v15                               // 0000000048E0: 021E1F7F
	v_add_f32_e32 v38, v15, v38                                // 0000000048E4: 024C4D0F
	s_waitcnt lgkmcnt(0)                                       // 0000000048E8: BF8CC07F
	v_max3_f32 v48, |v64|, |v65|, v48                          // 0000000048EC: D1D30330 04C28340
	v_max3_f32 v48, |v66|, |v67|, v48                          // 0000000048F4: D1D30330 04C28742
	v_max3_f32 v48, |v68|, |v69|, v48                          // 0000000048FC: D1D30330 04C28B44
	v_max3_f32 v48, |v70|, |v71|, v48                          // 000000004904: D1D30330 04C28F46
	v_max3_f32 v48, |v72|, |v73|, v48                          // 00000000490C: D1D30330 04C29348
	v_max3_f32 v48, |v74|, |v75|, v48                          // 000000004914: D1D30330 04C2974A
	v_max3_f32 v48, |v76|, |v77|, v48                          // 00000000491C: D1D30330 04C29B4C
	v_max3_f32 v48, |v78|, |v79|, v48                          // 000000004924: D1D30330 04C29F4E
	s_nop 2                                                    // 00000000492C: BF800002
	v_rcp_f32_e32 v48, v48                                     // 000000004930: 7E604530
	s_nop 1                                                    // 000000004934: BF800001
	v_mul_f32_e32 v48, 0x43e00000, v48                         // 000000004938: 0A6060FF 43E00000
	v_mul_f32_e32 v112, v48, v240                              // 000000004940: 0AE1E130
	v_mul_f32_e32 v113, v48, v241                              // 000000004944: 0AE3E330
	v_mul_f32_e32 v114, v48, v242                              // 000000004948: 0AE5E530
	v_mul_f32_e32 v115, v48, v243                              // 00000000494C: 0AE7E730
	v_mul_f32_e32 v116, v48, v244                              // 000000004950: 0AE9E930
	v_mul_f32_e32 v117, v48, v245                              // 000000004954: 0AEBEB30
	v_mul_f32_e32 v118, v48, v246                              // 000000004958: 0AEDED30
	v_mul_f32_e32 v119, v48, v247                              // 00000000495C: 0AEFEF30
	v_mul_f32_e32 v120, v48, v248                              // 000000004960: 0AF1F130
	v_mul_f32_e32 v121, v48, v249                              // 000000004964: 0AF3F330
	v_mul_f32_e32 v122, v48, v250                              // 000000004968: 0AF5F530
	v_mul_f32_e32 v123, v48, v251                              // 00000000496C: 0AF7F730
	v_mul_f32_e32 v124, v48, v252                              // 000000004970: 0AF9F930
	v_mul_f32_e32 v125, v48, v253                              // 000000004974: 0AFBFB30
	v_mul_f32_e32 v126, v48, v254                              // 000000004978: 0AFDFD30
	v_mul_f32_e32 v127, v48, v255                              // 00000000497C: 0AFFFF30
	v_cvt_pk_fp8_f32 v112, v112, v113                          // 000000004980: D2A20070 0002E370
	v_cvt_pk_fp8_f32 v112, v114, v115 op_sel:[0,0,1]           // 000000004988: D2A24070 0002E772
	v_cvt_pk_fp8_f32 v113, v116, v117                          // 000000004990: D2A20071 0002EB74
	v_cvt_pk_fp8_f32 v113, v118, v119 op_sel:[0,0,1]           // 000000004998: D2A24071 0002EF76
	v_cvt_pk_fp8_f32 v114, v120, v121                          // 0000000049A0: D2A20072 0002F378
	v_cvt_pk_fp8_f32 v114, v122, v123 op_sel:[0,0,1]           // 0000000049A8: D2A24072 0002F77A
	v_cvt_pk_fp8_f32 v115, v124, v125                          // 0000000049B0: D2A20073 0002FB7C
	v_cvt_pk_fp8_f32 v115, v126, v127 op_sel:[0,0,1]           // 0000000049B8: D2A24073 0002FF7E
	ds_write_b32 v10, v112 offset:25088                        // 0000000049C0: D81A6200 0000700A
	ds_write_b32 v10, v113 offset:26112                        // 0000000049C8: D81A6600 0000710A
	ds_write_b32 v10, v114 offset:27136                        // 0000000049D0: D81A6A00 0000720A
	ds_write_b32 v10, v115 offset:28160                        // 0000000049D8: D81A6E00 0000730A
	v_add_f32_e32 v208, v208, v176                             // 0000000049E0: 03A161D0
	v_add_f32_e32 v209, v209, v177                             // 0000000049E4: 03A363D1
	v_add_f32_e32 v210, v210, v178                             // 0000000049E8: 03A565D2
	v_add_f32_e32 v211, v211, v179                             // 0000000049EC: 03A767D3
	v_add_f32_e32 v212, v212, v180                             // 0000000049F0: 03A969D4
	v_add_f32_e32 v213, v213, v181                             // 0000000049F4: 03AB6BD5
	v_add_f32_e32 v214, v214, v182                             // 0000000049F8: 03AD6DD6
	v_add_f32_e32 v215, v215, v183                             // 0000000049FC: 03AF6FD7
	v_rcp_f32_e32 v44, v48                                     // 000000004A00: 7E584530
	s_waitcnt lgkmcnt(0)                                       // 000000004A04: BF8CC07F
	s_barrier                                                  // 000000004A08: BF8A0000
	ds_read_b64 v[112:113], v9 offset:25088                    // 000000004A0C: D8EC6200 70000009
	ds_read_b64 v[114:115], v9 offset:25216                    // 000000004A14: D8EC6280 72000009
	ds_read_b64 v[116:117], v9 offset:26112                    // 000000004A1C: D8EC6600 74000009
	ds_read_b64 v[118:119], v9 offset:26240                    // 000000004A24: D8EC6680 76000009
	ds_read_b64 v[120:121], v9 offset:27136                    // 000000004A2C: D8EC6A00 78000009
	ds_read_b64 v[122:123], v9 offset:27264                    // 000000004A34: D8EC6A80 7A000009
	ds_read_b64 v[124:125], v9 offset:28160                    // 000000004A3C: D8EC6E00 7C000009
	ds_read_b64 v[126:127], v9 offset:28288                    // 000000004A44: D8EC6E80 7E000009
	s_waitcnt vmcnt(15)                                        // 000000004A4C: BF8C0F7F
	s_waitcnt lgkmcnt(7)                                       // 000000004A50: BF8CC77F
	v_mfma_f32_16x16x32_fp8_fp8 v[176:179], a[64:65], v[112:113], 0// 000000004A54: D3F300B0 0A02E140
	buffer_load_dwordx4 a[112:115], v34, s[20:23], 0 offen offset:1024// 000000004A5C: E05C1400 80857022
	s_waitcnt lgkmcnt(6)                                       // 000000004A64: BF8CC67F
	v_mfma_f32_16x16x32_fp8_fp8 v[176:179], a[66:67], v[114:115], v[176:179]// 000000004A68: D3F300B0 0EC2E542
	s_waitcnt lgkmcnt(5)                                       // 000000004A70: BF8CC57F
	v_mfma_f32_16x16x32_fp8_fp8 v[176:179], a[68:69], v[116:117], v[176:179]// 000000004A74: D3F300B0 0EC2E944
	s_waitcnt lgkmcnt(4)                                       // 000000004A7C: BF8CC47F
	v_mfma_f32_16x16x32_fp8_fp8 v[176:179], a[70:71], v[118:119], v[176:179]// 000000004A80: D3F300B0 0EC2ED46
	s_waitcnt lgkmcnt(3)                                       // 000000004A88: BF8CC37F
	v_mfma_f32_16x16x32_fp8_fp8 v[176:179], a[72:73], v[120:121], v[176:179]// 000000004A8C: D3F300B0 0EC2F148
	buffer_load_dwordx4 a[116:119], v35, s[20:23], 0 offen offset:1024// 000000004A94: E05C1400 80857423
	s_waitcnt lgkmcnt(2)                                       // 000000004A9C: BF8CC27F
	v_mfma_f32_16x16x32_fp8_fp8 v[176:179], a[74:75], v[122:123], v[176:179]// 000000004AA0: D3F300B0 0EC2F54A
	s_waitcnt lgkmcnt(1)                                       // 000000004AA8: BF8CC17F
	v_mfma_f32_16x16x32_fp8_fp8 v[176:179], a[76:77], v[124:125], v[176:179]// 000000004AAC: D3F300B0 0EC2F94C
	s_waitcnt lgkmcnt(0)                                       // 000000004AB4: BF8CC07F
	v_mfma_f32_16x16x32_fp8_fp8 v[176:179], a[78:79], v[126:127], v[176:179]// 000000004AB8: D3F300B0 0EC2FD4E
	v_mfma_f32_16x16x32_fp8_fp8 v[180:183], a[80:81], v[112:113], 0// 000000004AC0: D3F300B4 0A02E150
	buffer_load_dwordx4 a[120:123], v36, s[20:23], 0 offen offset:1024// 000000004AC8: E05C1400 80857824
	v_mfma_f32_16x16x32_fp8_fp8 v[180:183], a[82:83], v[114:115], v[180:183]// 000000004AD0: D3F300B4 0ED2E552
	v_mfma_f32_16x16x32_fp8_fp8 v[180:183], a[84:85], v[116:117], v[180:183]// 000000004AD8: D3F300B4 0ED2E954
	v_mfma_f32_16x16x32_fp8_fp8 v[180:183], a[86:87], v[118:119], v[180:183]// 000000004AE0: D3F300B4 0ED2ED56
	v_mfma_f32_16x16x32_fp8_fp8 v[180:183], a[88:89], v[120:121], v[180:183]// 000000004AE8: D3F300B4 0ED2F158
	buffer_load_dwordx4 a[124:127], v37, s[20:23], 0 offen offset:1024// 000000004AF0: E05C1400 80857C25
	v_mfma_f32_16x16x32_fp8_fp8 v[180:183], a[90:91], v[122:123], v[180:183]// 000000004AF8: D3F300B4 0ED2F55A
	v_mfma_f32_16x16x32_fp8_fp8 v[180:183], a[92:93], v[124:125], v[180:183]// 000000004B00: D3F300B4 0ED2F95C
	s_lshr_b32 s57, s70, 4                                     // 000000004B08: 8F398446
	s_add_u32 s57, 48, s57                                     // 000000004B0C: 803939B0
	v_mfma_f32_16x16x32_fp8_fp8 v[180:183], a[94:95], v[126:127], v[180:183]// 000000004B10: D3F300B4 0ED2FD5E
	s_cmp_ge_u32 s57, s73                                      // 000000004B18: BF094939
	s_cselect_b32 s56, 0, s56                                  // 000000004B1C: 85383880
	v_add_u32_e32 v1, s56, v1                                  // 000000004B20: 68020238
	s_addk_i32 s70, 0x100                                      // 000000004B24: B7460100
	s_cmp_lt_i32 s70, s71                                      // 000000004B28: BF044746
	s_cbranch_scc0 label_0787                                  // 000000004B2C: BF84FD3B
	s_waitcnt vmcnt(8) lgkmcnt(0)                              // 000000004B30: BF8C0078
	v_mul_u32_u24_dpp v64, v16, v54 row_newbcast:0 row_mask:0xf bank_mask:0xf// 000000004B34: 10806CFA FF015010
	v_mul_u32_u24_dpp v65, v16, v54 row_newbcast:4 row_mask:0xf bank_mask:0xf// 000000004B3C: 10826CFA FF015410
	v_mul_u32_u24_dpp v66, v16, v54 row_newbcast:8 row_mask:0xf bank_mask:0xf// 000000004B44: 10846CFA FF015810
	v_mul_u32_u24_dpp v67, v16, v54 row_newbcast:12 row_mask:0xf bank_mask:0xf// 000000004B4C: 10866CFA FF015C10
	v_add_u32_e32 v22, v64, v5                                 // 000000004B54: 682C0B40
	v_add_u32_e32 v23, v65, v5                                 // 000000004B58: 682E0B41
	v_add_u32_e32 v24, v66, v5                                 // 000000004B5C: 68300B42
	v_add_u32_e32 v25, v67, v5                                 // 000000004B60: 68320B43
	v_mul_u32_u24_dpp v64, v16, v63 quad_perm:[0,0,0,0] row_mask:0xf bank_mask:0xf// 000000004B64: 10807EFA FF000010
	v_add_u32_e32 v2, v64, v59                                 // 000000004B6C: 68047740
	v_mul_u32_u24_dpp v64, v16, v63 quad_perm:[0,0,0,0] row_mask:0xf bank_mask:0xf// 000000004B70: 10807EFA FF000010
	v_add_u32_e32 v55, v64, v60                                // 000000004B78: 686E7940
	v_mfma_f32_16x16x32_fp8_fp8 v[112:115], a[32:33], v[80:81], 0// 000000004B7C: D3F30070 0A02A120
	buffer_load_dwordx4 a[0:3], v22, s[16:19], 0 offen         // 000000004B84: E05C1000 80840016
	v_mfma_f32_16x16x32_fp8_fp8 v[112:115], a[34:35], v[82:83], v[112:115]// 000000004B8C: D3F30070 0DC2A522
	v_mfma_f32_16x16x32_fp8_fp8 v[112:115], a[36:37], v[84:85], v[112:115]// 000000004B94: D3F30070 0DC2A924
	buffer_load_dword v17, v1, s[24:27], 0 offen               // 000000004B9C: E0501000 80061101
	v_mfma_f32_16x16x32_fp8_fp8 v[112:115], a[38:39], v[86:87], v[112:115]// 000000004BA4: D3F30070 0DC2AD26
	v_mfma_f32_16x16x32_fp8_fp8 v[116:119], a[40:41], v[80:81], 0// 000000004BAC: D3F30074 0A02A128
	buffer_load_dwordx4 a[4:7], v22, s[16:19], 0 offen offset:1024// 000000004BB4: E05C1400 80840416
	v_mfma_f32_16x16x32_fp8_fp8 v[116:119], a[42:43], v[82:83], v[116:119]// 000000004BBC: D3F30074 0DD2A52A
	v_mfma_f32_16x16x32_fp8_fp8 v[116:119], a[44:45], v[84:85], v[116:119]// 000000004BC4: D3F30074 0DD2A92C
	v_mfma_f32_16x16x32_fp8_fp8 v[116:119], a[46:47], v[86:87], v[116:119]// 000000004BCC: D3F30074 0DD2AD2E
	v_mfma_f32_16x16x32_fp8_fp8 v[120:123], a[48:49], v[80:81], 0// 000000004BD4: D3F30078 0A02A130
	buffer_load_dwordx4 a[8:11], v23, s[16:19], 0 offen        // 000000004BDC: E05C1000 80840817
	v_mfma_f32_16x16x32_fp8_fp8 v[120:123], a[50:51], v[82:83], v[120:123]// 000000004BE4: D3F30078 0DE2A532
	v_mfma_f32_16x16x32_fp8_fp8 v[120:123], a[52:53], v[84:85], v[120:123]// 000000004BEC: D3F30078 0DE2A934
	v_mfma_f32_16x16x32_fp8_fp8 v[120:123], a[54:55], v[86:87], v[120:123]// 000000004BF4: D3F30078 0DE2AD36
	v_mfma_f32_16x16x32_fp8_fp8 v[124:127], a[56:57], v[80:81], 0// 000000004BFC: D3F3007C 0A02A138
	buffer_load_dwordx4 a[12:15], v23, s[16:19], 0 offen offset:1024// 000000004C04: E05C1400 80840C17
	v_mfma_f32_16x16x32_fp8_fp8 v[124:127], a[58:59], v[82:83], v[124:127]// 000000004C0C: D3F3007C 0DF2A53A
	v_mfma_f32_16x16x32_fp8_fp8 v[124:127], a[60:61], v[84:85], v[124:127]// 000000004C14: D3F3007C 0DF2A93C
	v_mfma_f32_16x16x32_fp8_fp8 v[124:127], a[62:63], v[86:87], v[124:127]// 000000004C1C: D3F3007C 0DF2AD3E
	buffer_load_dword v42, v2, s[32:35], 0 offen               // 000000004C24: E0501000 80082A02
	v_mov_b32_dpp v64, v43 row_shr:4 row_mask:0xf bank_mask:0xf// 000000004C2C: 7E8002FA FF01142B
	v_mov_b32_dpp v65, v43 row_shl:4 row_mask:0xf bank_mask:0xf// 000000004C34: 7E8202FA FF01042B
	v_cndmask_b32_e64 v248, v43, v64, s[44:45]                 // 000000004C3C: D10000F8 00B2812B
	v_cndmask_b32_e64 v249, v65, v43, s[44:45]                 // 000000004C44: D10000F9 00B25741
	v_mov_b32_dpp v64, v248 row_shr:8 row_mask:0xf bank_mask:0xf// 000000004C4C: 7E8002FA FF0118F8
	v_mov_b32_dpp v65, v248 row_shl:8 row_mask:0xf bank_mask:0xf// 000000004C54: 7E8202FA FF0108F8
	v_mov_b32_dpp v66, v249 row_shr:8 row_mask:0xf bank_mask:0xf// 000000004C5C: 7E8402FA FF0118F9
	v_mov_b32_dpp v67, v249 row_shl:8 row_mask:0xf bank_mask:0xf// 000000004C64: 7E8602FA FF0108F9
	v_mov_b32_e32 v68, v248                                    // 000000004C6C: 7E8803F8
	v_mov_b32_e32 v69, v249                                    // 000000004C70: 7E8A03F9
	v_cndmask_b32_e64 v248, v68, v64, s[42:43]                 // 000000004C74: D10000F8 00AA8144
	v_cndmask_b32_e64 v250, v68, v65, s[78:79]                 // 000000004C7C: D10000FA 013A8344
	v_cndmask_b32_e64 v249, v69, v66, s[42:43]                 // 000000004C84: D10000F9 00AA8545
	v_cndmask_b32_e64 v251, v69, v67, s[78:79]                 // 000000004C8C: D10000FB 013A8745
	v_mov_b32_dpp v64, v58 row_shr:4 row_mask:0xf bank_mask:0xf// 000000004C94: 7E8002FA FF01143A
	v_mov_b32_dpp v65, v58 row_shl:4 row_mask:0xf bank_mask:0xf// 000000004C9C: 7E8202FA FF01043A
	v_cndmask_b32_e64 v252, v58, v64, s[44:45]                 // 000000004CA4: D10000FC 00B2813A
	v_cndmask_b32_e64 v253, v65, v58, s[44:45]                 // 000000004CAC: D10000FD 00B27541
	v_mov_b32_dpp v64, v252 row_shr:8 row_mask:0xf bank_mask:0xf// 000000004CB4: 7E8002FA FF0118FC
	v_mov_b32_dpp v65, v252 row_shl:8 row_mask:0xf bank_mask:0xf// 000000004CBC: 7E8202FA FF0108FC
	v_mov_b32_dpp v66, v253 row_shr:8 row_mask:0xf bank_mask:0xf// 000000004CC4: 7E8402FA FF0118FD
	v_mov_b32_dpp v67, v253 row_shl:8 row_mask:0xf bank_mask:0xf// 000000004CCC: 7E8602FA FF0108FD
	v_mov_b32_e32 v68, v252                                    // 000000004CD4: 7E8803FC
	v_mov_b32_e32 v69, v253                                    // 000000004CD8: 7E8A03FD
	v_cndmask_b32_e64 v252, v68, v64, s[42:43]                 // 000000004CDC: D10000FC 00AA8144
	v_cndmask_b32_e64 v254, v68, v65, s[78:79]                 // 000000004CE4: D10000FE 013A8344
	v_cndmask_b32_e64 v253, v69, v66, s[42:43]                 // 000000004CEC: D10000FD 00AA8545
	v_cndmask_b32_e64 v255, v69, v67, s[78:79]                 // 000000004CF4: D10000FF 013A8745
	buffer_load_dword v57, v55, s[36:39], 0 offen              // 000000004CFC: E0501000 80093937
	v_mul_f32_e32 v112, v18, v112                              // 000000004D04: 0AE0E112
	v_mul_f32_e32 v113, v18, v113                              // 000000004D08: 0AE2E312
	v_mul_f32_e32 v114, v18, v114                              // 000000004D0C: 0AE4E512
	v_mul_f32_e32 v115, v18, v115                              // 000000004D10: 0AE6E712
	v_mul_f32_e32 v116, v18, v116                              // 000000004D14: 0AE8E912
	v_mul_f32_e32 v117, v18, v117                              // 000000004D18: 0AEAEB12
	v_mul_f32_e32 v118, v18, v118                              // 000000004D1C: 0AECED12
	v_mul_f32_e32 v119, v18, v119                              // 000000004D20: 0AEEEF12
	v_mul_f32_e32 v120, v18, v120                              // 000000004D24: 0AF0F112
	v_mul_f32_e32 v121, v18, v121                              // 000000004D28: 0AF2F312
	v_mul_f32_e32 v122, v18, v122                              // 000000004D2C: 0AF4F512
	v_mul_f32_e32 v123, v18, v123                              // 000000004D30: 0AF6F712
	v_mul_f32_e32 v124, v18, v124                              // 000000004D34: 0AF8F912
	v_mul_f32_e32 v125, v18, v125                              // 000000004D38: 0AFAFB12
	v_mul_f32_e32 v126, v18, v126                              // 000000004D3C: 0AFCFD12
	v_mul_f32_e32 v127, v18, v127                              // 000000004D40: 0AFEFF12
	buffer_load_dwordx4 a[16:19], v24, s[16:19], 0 offen       // 000000004D44: E05C1000 80841018
	v_mul_f32_dpp v112, v248, v112 quad_perm:[0,0,0,0] row_mask:0xf bank_mask:0xf// 000000004D4C: 0AE0E0FA FF0000F8
	v_mul_f32_dpp v113, v248, v113 quad_perm:[1,1,1,1] row_mask:0xf bank_mask:0xf// 000000004D54: 0AE2E2FA FF0055F8
	v_mul_f32_dpp v114, v248, v114 quad_perm:[2,2,2,2] row_mask:0xf bank_mask:0xf// 000000004D5C: 0AE4E4FA FF00AAF8
	v_mul_f32_dpp v115, v248, v115 quad_perm:[3,3,3,3] row_mask:0xf bank_mask:0xf// 000000004D64: 0AE6E6FA FF00FFF8
	v_mul_f32_dpp v116, v249, v116 quad_perm:[0,0,0,0] row_mask:0xf bank_mask:0xf// 000000004D6C: 0AE8E8FA FF0000F9
	v_mul_f32_dpp v117, v249, v117 quad_perm:[1,1,1,1] row_mask:0xf bank_mask:0xf// 000000004D74: 0AEAEAFA FF0055F9
	v_mul_f32_dpp v118, v249, v118 quad_perm:[2,2,2,2] row_mask:0xf bank_mask:0xf// 000000004D7C: 0AECECFA FF00AAF9
	v_mul_f32_dpp v119, v249, v119 quad_perm:[3,3,3,3] row_mask:0xf bank_mask:0xf// 000000004D84: 0AEEEEFA FF00FFF9
	v_mul_f32_dpp v120, v250, v120 quad_perm:[0,0,0,0] row_mask:0xf bank_mask:0xf// 000000004D8C: 0AF0F0FA FF0000FA
	v_mul_f32_dpp v121, v250, v121 quad_perm:[1,1,1,1] row_mask:0xf bank_mask:0xf// 000000004D94: 0AF2F2FA FF0055FA
	v_mul_f32_dpp v122, v250, v122 quad_perm:[2,2,2,2] row_mask:0xf bank_mask:0xf// 000000004D9C: 0AF4F4FA FF00AAFA
	v_mul_f32_dpp v123, v250, v123 quad_perm:[3,3,3,3] row_mask:0xf bank_mask:0xf// 000000004DA4: 0AF6F6FA FF00FFFA
	v_mul_f32_dpp v124, v251, v124 quad_perm:[0,0,0,0] row_mask:0xf bank_mask:0xf// 000000004DAC: 0AF8F8FA FF0000FB
	v_mul_f32_dpp v125, v251, v125 quad_perm:[1,1,1,1] row_mask:0xf bank_mask:0xf// 000000004DB4: 0AFAFAFA FF0055FB
	v_mul_f32_dpp v126, v251, v126 quad_perm:[2,2,2,2] row_mask:0xf bank_mask:0xf// 000000004DBC: 0AFCFCFA FF00AAFB
	v_mul_f32_dpp v127, v251, v127 quad_perm:[3,3,3,3] row_mask:0xf bank_mask:0xf// 000000004DC4: 0AFEFEFA FF00FFFB
	buffer_load_dwordx4 a[20:23], v24, s[16:19], 0 offen offset:1024// 000000004DCC: E05C1400 80841418
	s_cmp_le_i32 s90, s89                                      // 000000004DD4: BF05595A
	s_cbranch_scc1 label_0B68                                  // 000000004DD8: BF850071
	v_mov_b32_e32 v66, 0xff800000                              // 000000004DDC: 7E8402FF FF800000
	s_mov_b32 s60, s90                                         // 000000004DE4: BEBC005A
	s_add_u32 s61, s89, 0xff                                   // 000000004DE8: 803DFF59 000000FF
	v_mov_b32_e32 v64, s61                                     // 000000004DF0: 7E80023D
	v_lshrrev_b32_e32 v240, 4, v0                              // 000000004DF4: 21E00084
	v_mul_i32_i24_e32 v240, 4, v240                            // 000000004DF8: 0DE1E084
	v_add_u32_e32 v240, s60, v240                              // 000000004DFC: 69E1E03C
	s_mov_b32 s61, 0                                           // 000000004E00: BEBD0080
	s_mul_i32 s60, 16, s7                                      // 000000004E04: 923C0790
	v_sub_u32_e64 v240, v240, s61                              // 000000004E08: D13500F0 00007BF0
	v_add_u32_e32 v240, s60, v240                              // 000000004E10: 69E1E03C
	v_add_u32_e32 v241, 1, v240                                // 000000004E14: 69E3E081
	v_add_u32_e32 v242, 2, v240                                // 000000004E18: 69E5E082
	v_add_u32_e32 v243, 3, v240                                // 000000004E1C: 69E7E083
	v_cmp_le_u32_e64 s[40:41], v240, v64                       // 000000004E20: D0CB0028 000281F0
	v_add_u32_e32 v240, 64, v240                               // 000000004E28: 69E1E0C0
	s_nop 0                                                    // 000000004E2C: BF800000
	v_cndmask_b32_e64 v112, v66, v112, s[40:41]                // 000000004E30: D1000070 00A2E142
	v_cmp_le_u32_e64 s[40:41], v241, v64                       // 000000004E38: D0CB0028 000281F1
	v_add_u32_e32 v241, 64, v241                               // 000000004E40: 69E3E2C0
	s_nop 0                                                    // 000000004E44: BF800000
	v_cndmask_b32_e64 v113, v66, v113, s[40:41]                // 000000004E48: D1000071 00A2E342
	v_cmp_le_u32_e64 s[40:41], v242, v64                       // 000000004E50: D0CB0028 000281F2
	v_add_u32_e32 v242, 64, v242                               // 000000004E58: 69E5E4C0
	s_nop 0                                                    // 000000004E5C: BF800000
	v_cndmask_b32_e64 v114, v66, v114, s[40:41]                // 000000004E60: D1000072 00A2E542
	v_cmp_le_u32_e64 s[40:41], v243, v64                       // 000000004E68: D0CB0028 000281F3
	v_add_u32_e32 v243, 64, v243                               // 000000004E70: 69E7E6C0
	s_nop 0                                                    // 000000004E74: BF800000
	v_cndmask_b32_e64 v115, v66, v115, s[40:41]                // 000000004E78: D1000073 00A2E742
	v_cmp_le_u32_e64 s[40:41], v240, v64                       // 000000004E80: D0CB0028 000281F0
	v_add_u32_e32 v240, 64, v240                               // 000000004E88: 69E1E0C0
	s_nop 0                                                    // 000000004E8C: BF800000
	v_cndmask_b32_e64 v116, v66, v116, s[40:41]                // 000000004E90: D1000074 00A2E942
	v_cmp_le_u32_e64 s[40:41], v241, v64                       // 000000004E98: D0CB0028 000281F1
	v_add_u32_e32 v241, 64, v241                               // 000000004EA0: 69E3E2C0
	s_nop 0                                                    // 000000004EA4: BF800000
	v_cndmask_b32_e64 v117, v66, v117, s[40:41]                // 000000004EA8: D1000075 00A2EB42
	v_cmp_le_u32_e64 s[40:41], v242, v64                       // 000000004EB0: D0CB0028 000281F2
	v_add_u32_e32 v242, 64, v242                               // 000000004EB8: 69E5E4C0
	s_nop 0                                                    // 000000004EBC: BF800000
	v_cndmask_b32_e64 v118, v66, v118, s[40:41]                // 000000004EC0: D1000076 00A2ED42
	v_cmp_le_u32_e64 s[40:41], v243, v64                       // 000000004EC8: D0CB0028 000281F3
	v_add_u32_e32 v243, 64, v243                               // 000000004ED0: 69E7E6C0
	s_nop 0                                                    // 000000004ED4: BF800000
	v_cndmask_b32_e64 v119, v66, v119, s[40:41]                // 000000004ED8: D1000077 00A2EF42
	v_cmp_le_u32_e64 s[40:41], v240, v64                       // 000000004EE0: D0CB0028 000281F0
	v_add_u32_e32 v240, 64, v240                               // 000000004EE8: 69E1E0C0
	s_nop 0                                                    // 000000004EEC: BF800000
	v_cndmask_b32_e64 v120, v66, v120, s[40:41]                // 000000004EF0: D1000078 00A2F142
	v_cmp_le_u32_e64 s[40:41], v241, v64                       // 000000004EF8: D0CB0028 000281F1
	v_add_u32_e32 v241, 64, v241                               // 000000004F00: 69E3E2C0
	s_nop 0                                                    // 000000004F04: BF800000
	v_cndmask_b32_e64 v121, v66, v121, s[40:41]                // 000000004F08: D1000079 00A2F342
	v_cmp_le_u32_e64 s[40:41], v242, v64                       // 000000004F10: D0CB0028 000281F2
	v_add_u32_e32 v242, 64, v242                               // 000000004F18: 69E5E4C0
	s_nop 0                                                    // 000000004F1C: BF800000
	v_cndmask_b32_e64 v122, v66, v122, s[40:41]                // 000000004F20: D100007A 00A2F542
	v_cmp_le_u32_e64 s[40:41], v243, v64                       // 000000004F28: D0CB0028 000281F3
	v_add_u32_e32 v243, 64, v243                               // 000000004F30: 69E7E6C0
	s_nop 0                                                    // 000000004F34: BF800000
	v_cndmask_b32_e64 v123, v66, v123, s[40:41]                // 000000004F38: D100007B 00A2F742
	v_cmp_le_u32_e64 s[40:41], v240, v64                       // 000000004F40: D0CB0028 000281F0
	v_add_u32_e32 v240, 64, v240                               // 000000004F48: 69E1E0C0
	s_nop 0                                                    // 000000004F4C: BF800000
	v_cndmask_b32_e64 v124, v66, v124, s[40:41]                // 000000004F50: D100007C 00A2F942
	v_cmp_le_u32_e64 s[40:41], v241, v64                       // 000000004F58: D0CB0028 000281F1
	v_add_u32_e32 v241, 64, v241                               // 000000004F60: 69E3E2C0
	s_nop 0                                                    // 000000004F64: BF800000
	v_cndmask_b32_e64 v125, v66, v125, s[40:41]                // 000000004F68: D100007D 00A2FB42
	v_cmp_le_u32_e64 s[40:41], v242, v64                       // 000000004F70: D0CB0028 000281F2
	v_add_u32_e32 v242, 64, v242                               // 000000004F78: 69E5E4C0
	s_nop 0                                                    // 000000004F7C: BF800000
	v_cndmask_b32_e64 v126, v66, v126, s[40:41]                // 000000004F80: D100007E 00A2FD42
	v_cmp_le_u32_e64 s[40:41], v243, v64                       // 000000004F88: D0CB0028 000281F3
	v_add_u32_e32 v243, 64, v243                               // 000000004F90: 69E7E6C0
	s_nop 0                                                    // 000000004F94: BF800000
	v_cndmask_b32_e64 v127, v66, v127, s[40:41]                // 000000004F98: D100007F 00A2FF42

0000000000004fa0 <label_0B68>:
	s_add_u32 s90, s91, s90                                    // 000000004FA0: 805A5A5B
	v_mov_b32_e32 v48, v112                                    // 000000004FA4: 7E600370
	v_max3_f32 v48, v112, v113, v48                            // 000000004FA8: D1D30030 04C2E370
	v_max3_f32 v48, v114, v115, v48                            // 000000004FB0: D1D30030 04C2E772
	v_max3_f32 v48, v116, v117, v48                            // 000000004FB8: D1D30030 04C2EB74
	v_max3_f32 v48, v118, v119, v48                            // 000000004FC0: D1D30030 04C2EF76
	v_max3_f32 v48, v120, v121, v48                            // 000000004FC8: D1D30030 04C2F378
	v_max3_f32 v48, v122, v123, v48                            // 000000004FD0: D1D30030 04C2F77A
	v_max3_f32 v48, v124, v125, v48                            // 000000004FD8: D1D30030 04C2FB7C
	v_max3_f32 v48, v126, v127, v48                            // 000000004FE0: D1D30030 04C2FF7E
	ds_write_b32 v8, v48 offset:16896                          // 000000004FE8: D81A4200 00003008
	buffer_load_dwordx4 a[24:27], v25, s[16:19], 0 offen       // 000000004FF0: E05C1000 80841819
	v_mul_u32_u24_dpp v64, v16, v54 row_newbcast:1 row_mask:0xf bank_mask:0xf// 000000004FF8: 10806CFA FF015110
	v_mul_u32_u24_dpp v65, v16, v54 row_newbcast:5 row_mask:0xf bank_mask:0xf// 000000005000: 10826CFA FF015510
	v_mul_u32_u24_dpp v66, v16, v54 row_newbcast:9 row_mask:0xf bank_mask:0xf// 000000005008: 10846CFA FF015910
	v_mul_u32_u24_dpp v67, v16, v54 row_newbcast:13 row_mask:0xf bank_mask:0xf// 000000005010: 10866CFA FF015D10
	v_add_u32_e32 v30, v64, v6                                 // 000000005018: 683C0D40
	v_add_u32_e32 v31, v65, v6                                 // 00000000501C: 683E0D41
	v_add_u32_e32 v32, v66, v6                                 // 000000005020: 68400D42
	v_add_u32_e32 v33, v67, v6                                 // 000000005024: 68420D43
	v_mul_f32_e32 v208, v49, v208                              // 000000005028: 0BA1A131
	v_mul_f32_e32 v209, v49, v209                              // 00000000502C: 0BA3A331
	v_mul_f32_e32 v210, v49, v210                              // 000000005030: 0BA5A531
	v_mul_f32_e32 v211, v49, v211                              // 000000005034: 0BA7A731
	v_mul_f32_e32 v212, v49, v212                              // 000000005038: 0BA9A931
	v_mul_f32_e32 v213, v49, v213                              // 00000000503C: 0BABAB31
	v_mul_f32_e32 v214, v49, v214                              // 000000005040: 0BADAD31
	v_mul_f32_e32 v215, v49, v215                              // 000000005044: 0BAFAF31
	s_waitcnt lgkmcnt(0)                                       // 000000005048: BF8CC07F
	s_barrier                                                  // 00000000504C: BF8A0000
	ds_read_b32 v64, v7 offset:16896                           // 000000005050: D86C4200 40000007
	ds_read_b32 v65, v7 offset:16960                           // 000000005058: D86C4240 41000007
	ds_read_b32 v66, v7 offset:17024                           // 000000005060: D86C4280 42000007
	ds_read_b32 v67, v7 offset:17088                           // 000000005068: D86C42C0 43000007
	ds_read_b32 v68, v7 offset:17152                           // 000000005070: D86C4300 44000007
	ds_read_b32 v69, v7 offset:17216                           // 000000005078: D86C4340 45000007
	ds_read_b32 v70, v7 offset:17280                           // 000000005080: D86C4380 46000007
	ds_read_b32 v71, v7 offset:17344                           // 000000005088: D86C43C0 47000007
	ds_read_b32 v72, v7 offset:17408                           // 000000005090: D86C4400 48000007
	ds_read_b32 v73, v7 offset:17472                           // 000000005098: D86C4440 49000007
	ds_read_b32 v74, v7 offset:17536                           // 0000000050A0: D86C4480 4A000007
	ds_read_b32 v75, v7 offset:17600                           // 0000000050A8: D86C44C0 4B000007
	ds_read_b32 v76, v7 offset:17664                           // 0000000050B0: D86C4500 4C000007
	ds_read_b32 v77, v7 offset:17728                           // 0000000050B8: D86C4540 4D000007
	ds_read_b32 v78, v7 offset:17792                           // 0000000050C0: D86C4580 4E000007
	ds_read_b32 v79, v7 offset:17856                           // 0000000050C8: D86C45C0 4F000007
	buffer_load_dwordx4 a[28:31], v25, s[16:19], 0 offen offset:1024// 0000000050D0: E05C1400 80841C19
	v_mul_f32_e32 v176, v44, v176                              // 0000000050D8: 0B61612C
	v_mul_f32_e32 v177, v44, v177                              // 0000000050DC: 0B63632C
	v_mul_f32_e32 v178, v44, v178                              // 0000000050E0: 0B65652C
	v_mul_f32_e32 v179, v44, v179                              // 0000000050E4: 0B67672C
	v_mul_f32_e32 v180, v44, v180                              // 0000000050E8: 0B69692C
	v_mul_f32_e32 v181, v44, v181                              // 0000000050EC: 0B6B6B2C
	v_mul_f32_e32 v182, v44, v182                              // 0000000050F0: 0B6D6D2C
	v_mul_f32_e32 v183, v44, v183                              // 0000000050F4: 0B6F6F2C
	s_waitcnt lgkmcnt(0)                                       // 0000000050F8: BF8CC07F
	v_max3_f32 v48, v64, v65, v48                              // 0000000050FC: D1D30030 04C28340
	v_max3_f32 v48, v66, v67, v48                              // 000000005104: D1D30030 04C28742
	v_max3_f32 v48, v68, v69, v48                              // 00000000510C: D1D30030 04C28B44
	v_max3_f32 v48, v70, v71, v48                              // 000000005114: D1D30030 04C28F46
	v_max3_f32 v48, v72, v73, v48                              // 00000000511C: D1D30030 04C29348
	v_max3_f32 v48, v74, v75, v48                              // 000000005124: D1D30030 04C2974A
	v_max3_f32 v48, v76, v77, v48                              // 00000000512C: D1D30030 04C29B4C
	v_max3_f32 v48, v78, v79, v48                              // 000000005134: D1D30030 04C29F4E
	buffer_load_dwordx4 a[64:67], v30, s[20:23], 0 offen       // 00000000513C: E05C1000 8085401E
	v_mov_b32_e32 v64, 0xff800000                              // 000000005144: 7E8002FF FF800000
	v_cmp_eq_u32_e64 s[40:41], v64, v11                        // 00000000514C: D0CA0028 00021740
	s_nop 1                                                    // 000000005154: BF800001
	v_max_f32_e32 v15, v48, v11                                // 000000005158: 161E1730
	v_mul_f32_e32 v53, s64, v15                                // 00000000515C: 0A6A1E40
	v_fma_f32 v112, v112, s64, -v53                            // 000000005160: D1CB0070 84D48170
	v_fma_f32 v113, v113, s64, -v53                            // 000000005168: D1CB0071 84D48171
	v_fma_f32 v114, v114, s64, -v53                            // 000000005170: D1CB0072 84D48172
	v_fma_f32 v115, v115, s64, -v53                            // 000000005178: D1CB0073 84D48173
	v_fma_f32 v116, v116, s64, -v53                            // 000000005180: D1CB0074 84D48174
	v_fma_f32 v117, v117, s64, -v53                            // 000000005188: D1CB0075 84D48175
	v_fma_f32 v118, v118, s64, -v53                            // 000000005190: D1CB0076 84D48176
	v_fma_f32 v119, v119, s64, -v53                            // 000000005198: D1CB0077 84D48177
	v_fma_f32 v120, v120, s64, -v53                            // 0000000051A0: D1CB0078 84D48178
	v_fma_f32 v121, v121, s64, -v53                            // 0000000051A8: D1CB0079 84D48179
	v_fma_f32 v122, v122, s64, -v53                            // 0000000051B0: D1CB007A 84D4817A
	v_fma_f32 v123, v123, s64, -v53                            // 0000000051B8: D1CB007B 84D4817B
	v_fma_f32 v124, v124, s64, -v53                            // 0000000051C0: D1CB007C 84D4817C
	v_fma_f32 v125, v125, s64, -v53                            // 0000000051C8: D1CB007D 84D4817D
	v_fma_f32 v126, v126, s64, -v53                            // 0000000051D0: D1CB007E 84D4817E
	v_fma_f32 v127, v127, s64, -v53                            // 0000000051D8: D1CB007F 84D4817F
	buffer_load_dwordx4 a[68:71], v31, s[20:23], 0 offen       // 0000000051E0: E05C1000 8085441F
	v_exp_f32_e32 v112, v112                                   // 0000000051E8: 7EE04170
	v_exp_f32_e32 v113, v113                                   // 0000000051EC: 7EE24171
	v_exp_f32_e32 v114, v114                                   // 0000000051F0: 7EE44172
	v_exp_f32_e32 v115, v115                                   // 0000000051F4: 7EE64173
	v_exp_f32_e32 v116, v116                                   // 0000000051F8: 7EE84174
	v_exp_f32_e32 v117, v117                                   // 0000000051FC: 7EEA4175
	v_exp_f32_e32 v118, v118                                   // 000000005200: 7EEC4176
	v_exp_f32_e32 v119, v119                                   // 000000005204: 7EEE4177
	v_exp_f32_e32 v120, v120                                   // 000000005208: 7EF04178
	v_exp_f32_e32 v121, v121                                   // 00000000520C: 7EF24179
	v_exp_f32_e32 v122, v122                                   // 000000005210: 7EF4417A
	v_exp_f32_e32 v123, v123                                   // 000000005214: 7EF6417B
	v_exp_f32_e32 v124, v124                                   // 000000005218: 7EF8417C
	v_exp_f32_e32 v125, v125                                   // 00000000521C: 7EFA417D
	v_exp_f32_e32 v126, v126                                   // 000000005220: 7EFC417E
	v_exp_f32_e32 v127, v127                                   // 000000005224: 7EFE417F
	buffer_load_dwordx4 a[72:75], v32, s[20:23], 0 offen       // 000000005228: E05C1000 80854820
	v_mul_f32_dpp v240, v252, v112 quad_perm:[0,0,0,0] row_mask:0xf bank_mask:0xf// 000000005230: 0BE0E0FA FF0000FC
	v_mul_f32_dpp v241, v252, v113 quad_perm:[1,1,1,1] row_mask:0xf bank_mask:0xf// 000000005238: 0BE2E2FA FF0055FC
	v_mul_f32_dpp v242, v252, v114 quad_perm:[2,2,2,2] row_mask:0xf bank_mask:0xf// 000000005240: 0BE4E4FA FF00AAFC
	v_mul_f32_dpp v243, v252, v115 quad_perm:[3,3,3,3] row_mask:0xf bank_mask:0xf// 000000005248: 0BE6E6FA FF00FFFC
	v_mul_f32_dpp v244, v253, v116 quad_perm:[0,0,0,0] row_mask:0xf bank_mask:0xf// 000000005250: 0BE8E8FA FF0000FD
	v_mul_f32_dpp v245, v253, v117 quad_perm:[1,1,1,1] row_mask:0xf bank_mask:0xf// 000000005258: 0BEAEAFA FF0055FD
	v_mul_f32_dpp v246, v253, v118 quad_perm:[2,2,2,2] row_mask:0xf bank_mask:0xf// 000000005260: 0BECECFA FF00AAFD
	v_mul_f32_dpp v247, v253, v119 quad_perm:[3,3,3,3] row_mask:0xf bank_mask:0xf// 000000005268: 0BEEEEFA FF00FFFD
	v_mul_f32_dpp v248, v254, v120 quad_perm:[0,0,0,0] row_mask:0xf bank_mask:0xf// 000000005270: 0BF0F0FA FF0000FE
	v_mul_f32_dpp v249, v254, v121 quad_perm:[1,1,1,1] row_mask:0xf bank_mask:0xf// 000000005278: 0BF2F2FA FF0055FE
	v_mul_f32_dpp v250, v254, v122 quad_perm:[2,2,2,2] row_mask:0xf bank_mask:0xf// 000000005280: 0BF4F4FA FF00AAFE
	v_mul_f32_dpp v251, v254, v123 quad_perm:[3,3,3,3] row_mask:0xf bank_mask:0xf// 000000005288: 0BF6F6FA FF00FFFE
	v_mul_f32_dpp v252, v255, v124 quad_perm:[0,0,0,0] row_mask:0xf bank_mask:0xf// 000000005290: 0BF8F8FA FF0000FF
	v_mul_f32_dpp v253, v255, v125 quad_perm:[1,1,1,1] row_mask:0xf bank_mask:0xf// 000000005298: 0BFAFAFA FF0055FF
	v_mul_f32_dpp v254, v255, v126 quad_perm:[2,2,2,2] row_mask:0xf bank_mask:0xf// 0000000052A0: 0BFCFCFA FF00AAFF
	v_mul_f32_dpp v255, v255, v127 quad_perm:[3,3,3,3] row_mask:0xf bank_mask:0xf// 0000000052A8: 0BFEFEFA FF00FFFF
	v_mov_b32_e32 v48, 0x358637bd                              // 0000000052B0: 7E6002FF 358637BD
	v_max3_f32 v48, |v240|, |v241|, v48                        // 0000000052B8: D1D30330 04C3E3F0
	v_max3_f32 v48, |v242|, |v243|, v48                        // 0000000052C0: D1D30330 04C3E7F2
	v_max3_f32 v48, |v244|, |v245|, v48                        // 0000000052C8: D1D30330 04C3EBF4
	v_max3_f32 v48, |v246|, |v247|, v48                        // 0000000052D0: D1D30330 04C3EFF6
	v_max3_f32 v48, |v248|, |v249|, v48                        // 0000000052D8: D1D30330 04C3F3F8
	v_max3_f32 v48, |v250|, |v251|, v48                        // 0000000052E0: D1D30330 04C3F7FA
	v_max3_f32 v48, |v252|, |v253|, v48                        // 0000000052E8: D1D30330 04C3FBFC
	v_max3_f32 v48, |v254|, |v255|, v48                        // 0000000052F0: D1D30330 04C3FFFE
	buffer_load_dwordx4 a[76:79], v33, s[20:23], 0 offen       // 0000000052F8: E05C1000 80854C21
	ds_write_b32 v8, v48 offset:20992                          // 000000005300: D81A5200 00003008
	v_sub_f32_e32 v49, v11, v15                                // 000000005308: 04621F0B
	v_cndmask_b32_e64 v49, v49, 0, s[40:41]                    // 00000000530C: D1000031 00A10131
	v_mov_b32_e32 v11, v15                                     // 000000005314: 7E16030F
	v_mul_f32_e32 v49, s64, v49                                // 000000005318: 0A626240
	v_exp_f32_e32 v49, v49                                     // 00000000531C: 7E624131
	s_waitcnt lgkmcnt(0)                                       // 000000005320: BF8CC07F
	s_barrier                                                  // 000000005324: BF8A0000
	ds_read_b32 v64, v7 offset:20992                           // 000000005328: D86C5200 40000007
	ds_read_b32 v65, v7 offset:21056                           // 000000005330: D86C5240 41000007
	ds_read_b32 v66, v7 offset:21120                           // 000000005338: D86C5280 42000007
	ds_read_b32 v67, v7 offset:21184                           // 000000005340: D86C52C0 43000007
	ds_read_b32 v68, v7 offset:21248                           // 000000005348: D86C5300 44000007
	ds_read_b32 v69, v7 offset:21312                           // 000000005350: D86C5340 45000007
	ds_read_b32 v70, v7 offset:21376                           // 000000005358: D86C5380 46000007
	ds_read_b32 v71, v7 offset:21440                           // 000000005360: D86C53C0 47000007
	ds_read_b32 v72, v7 offset:21504                           // 000000005368: D86C5400 48000007
	ds_read_b32 v73, v7 offset:21568                           // 000000005370: D86C5440 49000007
	ds_read_b32 v74, v7 offset:21632                           // 000000005378: D86C5480 4A000007
	ds_read_b32 v75, v7 offset:21696                           // 000000005380: D86C54C0 4B000007
	ds_read_b32 v76, v7 offset:21760                           // 000000005388: D86C5500 4C000007
	ds_read_b32 v77, v7 offset:21824                           // 000000005390: D86C5540 4D000007
	ds_read_b32 v78, v7 offset:21888                           // 000000005398: D86C5580 4E000007
	ds_read_b32 v79, v7 offset:21952                           // 0000000053A0: D86C55C0 4F000007
	v_mul_f32_e32 v38, v49, v38                                // 0000000053A8: 0A4C4D31
	v_mov_b32_e32 v15, v112                                    // 0000000053AC: 7E1E0370
	v_add_f32_e32 v15, v113, v15                               // 0000000053B0: 021E1F71
	v_add_f32_e32 v15, v114, v15                               // 0000000053B4: 021E1F72
	v_add_f32_e32 v15, v115, v15                               // 0000000053B8: 021E1F73
	v_add_f32_e32 v15, v116, v15                               // 0000000053BC: 021E1F74
	v_add_f32_e32 v15, v117, v15                               // 0000000053C0: 021E1F75
	v_add_f32_e32 v15, v118, v15                               // 0000000053C4: 021E1F76
	v_add_f32_e32 v15, v119, v15                               // 0000000053C8: 021E1F77
	v_add_f32_e32 v15, v120, v15                               // 0000000053CC: 021E1F78
	v_add_f32_e32 v15, v121, v15                               // 0000000053D0: 021E1F79
	v_add_f32_e32 v15, v122, v15                               // 0000000053D4: 021E1F7A
	v_add_f32_e32 v15, v123, v15                               // 0000000053D8: 021E1F7B
	v_add_f32_e32 v15, v124, v15                               // 0000000053DC: 021E1F7C
	v_add_f32_e32 v15, v125, v15                               // 0000000053E0: 021E1F7D
	v_add_f32_e32 v15, v126, v15                               // 0000000053E4: 021E1F7E
	v_add_f32_e32 v15, v127, v15                               // 0000000053E8: 021E1F7F
	v_add_f32_e32 v38, v15, v38                                // 0000000053EC: 024C4D0F
	s_waitcnt lgkmcnt(0)                                       // 0000000053F0: BF8CC07F
	v_max3_f32 v48, |v64|, |v65|, v48                          // 0000000053F4: D1D30330 04C28340
	v_max3_f32 v48, |v66|, |v67|, v48                          // 0000000053FC: D1D30330 04C28742
	v_max3_f32 v48, |v68|, |v69|, v48                          // 000000005404: D1D30330 04C28B44
	v_max3_f32 v48, |v70|, |v71|, v48                          // 00000000540C: D1D30330 04C28F46
	v_max3_f32 v48, |v72|, |v73|, v48                          // 000000005414: D1D30330 04C29348
	v_max3_f32 v48, |v74|, |v75|, v48                          // 00000000541C: D1D30330 04C2974A
	v_max3_f32 v48, |v76|, |v77|, v48                          // 000000005424: D1D30330 04C29B4C
	v_max3_f32 v48, |v78|, |v79|, v48                          // 00000000542C: D1D30330 04C29F4E
	s_nop 2                                                    // 000000005434: BF800002
	v_rcp_f32_e32 v48, v48                                     // 000000005438: 7E604530
	s_nop 1                                                    // 00000000543C: BF800001
	v_mul_f32_e32 v48, 0x43e00000, v48                         // 000000005440: 0A6060FF 43E00000
	v_mul_f32_e32 v112, v48, v240                              // 000000005448: 0AE1E130
	v_mul_f32_e32 v113, v48, v241                              // 00000000544C: 0AE3E330
	v_mul_f32_e32 v114, v48, v242                              // 000000005450: 0AE5E530
	v_mul_f32_e32 v115, v48, v243                              // 000000005454: 0AE7E730
	v_mul_f32_e32 v116, v48, v244                              // 000000005458: 0AE9E930
	v_mul_f32_e32 v117, v48, v245                              // 00000000545C: 0AEBEB30
	v_mul_f32_e32 v118, v48, v246                              // 000000005460: 0AEDED30
	v_mul_f32_e32 v119, v48, v247                              // 000000005464: 0AEFEF30
	v_mul_f32_e32 v120, v48, v248                              // 000000005468: 0AF1F130
	v_mul_f32_e32 v121, v48, v249                              // 00000000546C: 0AF3F330
	v_mul_f32_e32 v122, v48, v250                              // 000000005470: 0AF5F530
	v_mul_f32_e32 v123, v48, v251                              // 000000005474: 0AF7F730
	v_mul_f32_e32 v124, v48, v252                              // 000000005478: 0AF9F930
	v_mul_f32_e32 v125, v48, v253                              // 00000000547C: 0AFBFB30
	v_mul_f32_e32 v126, v48, v254                              // 000000005480: 0AFDFD30
	v_mul_f32_e32 v127, v48, v255                              // 000000005484: 0AFFFF30
	v_cvt_pk_fp8_f32 v112, v112, v113                          // 000000005488: D2A20070 0002E370
	v_cvt_pk_fp8_f32 v112, v114, v115 op_sel:[0,0,1]           // 000000005490: D2A24070 0002E772
	v_cvt_pk_fp8_f32 v113, v116, v117                          // 000000005498: D2A20071 0002EB74
	v_cvt_pk_fp8_f32 v113, v118, v119 op_sel:[0,0,1]           // 0000000054A0: D2A24071 0002EF76
	v_cvt_pk_fp8_f32 v114, v120, v121                          // 0000000054A8: D2A20072 0002F378
	v_cvt_pk_fp8_f32 v114, v122, v123 op_sel:[0,0,1]           // 0000000054B0: D2A24072 0002F77A
	v_cvt_pk_fp8_f32 v115, v124, v125                          // 0000000054B8: D2A20073 0002FB7C
	v_cvt_pk_fp8_f32 v115, v126, v127 op_sel:[0,0,1]           // 0000000054C0: D2A24073 0002FF7E
	ds_write_b32 v10, v112 offset:25088                        // 0000000054C8: D81A6200 0000700A
	ds_write_b32 v10, v113 offset:26112                        // 0000000054D0: D81A6600 0000710A
	ds_write_b32 v10, v114 offset:27136                        // 0000000054D8: D81A6A00 0000720A
	ds_write_b32 v10, v115 offset:28160                        // 0000000054E0: D81A6E00 0000730A
	v_add_f32_e32 v208, v208, v176                             // 0000000054E8: 03A161D0
	v_add_f32_e32 v209, v209, v177                             // 0000000054EC: 03A363D1
	v_add_f32_e32 v210, v210, v178                             // 0000000054F0: 03A565D2
	v_add_f32_e32 v211, v211, v179                             // 0000000054F4: 03A767D3
	v_add_f32_e32 v212, v212, v180                             // 0000000054F8: 03A969D4
	v_add_f32_e32 v213, v213, v181                             // 0000000054FC: 03AB6BD5
	v_add_f32_e32 v214, v214, v182                             // 000000005500: 03AD6DD6
	v_add_f32_e32 v215, v215, v183                             // 000000005504: 03AF6FD7
	v_rcp_f32_e32 v44, v48                                     // 000000005508: 7E584530
	s_waitcnt lgkmcnt(0)                                       // 00000000550C: BF8CC07F
	s_barrier                                                  // 000000005510: BF8A0000
	ds_read_b64 v[112:113], v9 offset:25088                    // 000000005514: D8EC6200 70000009
	ds_read_b64 v[114:115], v9 offset:25216                    // 00000000551C: D8EC6280 72000009
	ds_read_b64 v[116:117], v9 offset:26112                    // 000000005524: D8EC6600 74000009
	ds_read_b64 v[118:119], v9 offset:26240                    // 00000000552C: D8EC6680 76000009
	ds_read_b64 v[120:121], v9 offset:27136                    // 000000005534: D8EC6A00 78000009
	ds_read_b64 v[122:123], v9 offset:27264                    // 00000000553C: D8EC6A80 7A000009
	ds_read_b64 v[124:125], v9 offset:28160                    // 000000005544: D8EC6E00 7C000009
	ds_read_b64 v[126:127], v9 offset:28288                    // 00000000554C: D8EC6E80 7E000009
	s_waitcnt vmcnt(15)                                        // 000000005554: BF8C0F7F
	s_waitcnt lgkmcnt(7)                                       // 000000005558: BF8CC77F
	v_mfma_f32_16x16x32_fp8_fp8 v[176:179], a[96:97], v[112:113], 0// 00000000555C: D3F300B0 0A02E160
	buffer_load_dwordx4 a[80:83], v30, s[20:23], 0 offen offset:1024// 000000005564: E05C1400 8085501E
	s_waitcnt lgkmcnt(6)                                       // 00000000556C: BF8CC67F
	v_mfma_f32_16x16x32_fp8_fp8 v[176:179], a[98:99], v[114:115], v[176:179]// 000000005570: D3F300B0 0EC2E562
	s_waitcnt lgkmcnt(5)                                       // 000000005578: BF8CC57F
	v_mfma_f32_16x16x32_fp8_fp8 v[176:179], a[100:101], v[116:117], v[176:179]// 00000000557C: D3F300B0 0EC2E964
	s_waitcnt lgkmcnt(4)                                       // 000000005584: BF8CC47F
	v_mfma_f32_16x16x32_fp8_fp8 v[176:179], a[102:103], v[118:119], v[176:179]// 000000005588: D3F300B0 0EC2ED66
	s_waitcnt lgkmcnt(3)                                       // 000000005590: BF8CC37F
	v_mfma_f32_16x16x32_fp8_fp8 v[176:179], a[104:105], v[120:121], v[176:179]// 000000005594: D3F300B0 0EC2F168
	buffer_load_dwordx4 a[84:87], v31, s[20:23], 0 offen offset:1024// 00000000559C: E05C1400 8085541F
	s_waitcnt lgkmcnt(2)                                       // 0000000055A4: BF8CC27F
	v_mfma_f32_16x16x32_fp8_fp8 v[176:179], a[106:107], v[122:123], v[176:179]// 0000000055A8: D3F300B0 0EC2F56A
	s_waitcnt lgkmcnt(1)                                       // 0000000055B0: BF8CC17F
	v_mfma_f32_16x16x32_fp8_fp8 v[176:179], a[108:109], v[124:125], v[176:179]// 0000000055B4: D3F300B0 0EC2F96C
	s_waitcnt lgkmcnt(0)                                       // 0000000055BC: BF8CC07F
	v_mfma_f32_16x16x32_fp8_fp8 v[176:179], a[110:111], v[126:127], v[176:179]// 0000000055C0: D3F300B0 0EC2FD6E
	v_mfma_f32_16x16x32_fp8_fp8 v[180:183], a[112:113], v[112:113], 0// 0000000055C8: D3F300B4 0A02E170
	buffer_load_dwordx4 a[88:91], v32, s[20:23], 0 offen offset:1024// 0000000055D0: E05C1400 80855820
	v_mfma_f32_16x16x32_fp8_fp8 v[180:183], a[114:115], v[114:115], v[180:183]// 0000000055D8: D3F300B4 0ED2E572
	v_mfma_f32_16x16x32_fp8_fp8 v[180:183], a[116:117], v[116:117], v[180:183]// 0000000055E0: D3F300B4 0ED2E974
	v_mfma_f32_16x16x32_fp8_fp8 v[180:183], a[118:119], v[118:119], v[180:183]// 0000000055E8: D3F300B4 0ED2ED76
	v_mfma_f32_16x16x32_fp8_fp8 v[180:183], a[120:121], v[120:121], v[180:183]// 0000000055F0: D3F300B4 0ED2F178
	buffer_load_dwordx4 a[92:95], v33, s[20:23], 0 offen offset:1024// 0000000055F8: E05C1400 80855C21
	v_mfma_f32_16x16x32_fp8_fp8 v[180:183], a[122:123], v[122:123], v[180:183]// 000000005600: D3F300B4 0ED2F57A
	v_mfma_f32_16x16x32_fp8_fp8 v[180:183], a[124:125], v[124:125], v[180:183]// 000000005608: D3F300B4 0ED2F97C
	s_lshr_b32 s57, s70, 4                                     // 000000005610: 8F398446
	s_add_u32 s57, 48, s57                                     // 000000005614: 803939B0
	v_mfma_f32_16x16x32_fp8_fp8 v[180:183], a[126:127], v[126:127], v[180:183]// 000000005618: D3F300B4 0ED2FD7E
	s_cmp_ge_u32 s57, s73                                      // 000000005620: BF094939
	s_cselect_b32 s56, 0, s56                                  // 000000005624: 85383880
	v_add_u32_e32 v1, s56, v1                                  // 000000005628: 68020238
	s_addk_i32 s70, 0x100                                      // 00000000562C: B7460100
	s_cmp_lt_i32 s70, s71                                      // 000000005630: BF044746
	s_cbranch_scc0 label_0787                                  // 000000005634: BF84FA79
	s_branch label_078A                                        // 000000005638: BF82FA7B

000000000000563c <label_0D0F>:
	s_lshr_b32 s60, s71, 4                                     // 00000000563C: 8F3C8447
	s_cmp_eq_i32 s60, s73                                      // 000000005640: BF00493C
	s_cbranch_scc1 label_12FA                                  // 000000005644: BF8505E8
	s_lshr_b32 s60, s71, 8                                     // 000000005648: 8F3C8847
	s_and_b32 s60, s60, 1                                      // 00000000564C: 863C813C
	s_cmp_eq_i32 s60, 1                                        // 000000005650: BF00813C
	s_cbranch_scc1 label_1008                                  // 000000005654: BF8502F2
	s_waitcnt vmcnt(8) lgkmcnt(0)                              // 000000005658: BF8C0078
	s_barrier                                                  // 00000000565C: BF8A0000
	v_mfma_f32_16x16x32_fp8_fp8 v[112:115], a[0:1], v[80:81], 0// 000000005660: D3F30070 0A02A100
	v_mfma_f32_16x16x32_fp8_fp8 v[112:115], a[2:3], v[82:83], v[112:115]// 000000005668: D3F30070 0DC2A502
	v_mfma_f32_16x16x32_fp8_fp8 v[112:115], a[4:5], v[84:85], v[112:115]// 000000005670: D3F30070 0DC2A904
	v_mfma_f32_16x16x32_fp8_fp8 v[112:115], a[6:7], v[86:87], v[112:115]// 000000005678: D3F30070 0DC2AD06
	v_mfma_f32_16x16x32_fp8_fp8 v[116:119], a[8:9], v[80:81], 0// 000000005680: D3F30074 0A02A108
	v_mfma_f32_16x16x32_fp8_fp8 v[116:119], a[10:11], v[82:83], v[116:119]// 000000005688: D3F30074 0DD2A50A
	v_mfma_f32_16x16x32_fp8_fp8 v[116:119], a[12:13], v[84:85], v[116:119]// 000000005690: D3F30074 0DD2A90C
	v_mfma_f32_16x16x32_fp8_fp8 v[116:119], a[14:15], v[86:87], v[116:119]// 000000005698: D3F30074 0DD2AD0E
	v_mfma_f32_16x16x32_fp8_fp8 v[120:123], a[16:17], v[80:81], 0// 0000000056A0: D3F30078 0A02A110
	v_mfma_f32_16x16x32_fp8_fp8 v[120:123], a[18:19], v[82:83], v[120:123]// 0000000056A8: D3F30078 0DE2A512
	v_mfma_f32_16x16x32_fp8_fp8 v[120:123], a[20:21], v[84:85], v[120:123]// 0000000056B0: D3F30078 0DE2A914
	v_mfma_f32_16x16x32_fp8_fp8 v[120:123], a[22:23], v[86:87], v[120:123]// 0000000056B8: D3F30078 0DE2AD16
	v_mfma_f32_16x16x32_fp8_fp8 v[124:127], a[24:25], v[80:81], 0// 0000000056C0: D3F3007C 0A02A118
	v_mfma_f32_16x16x32_fp8_fp8 v[124:127], a[26:27], v[82:83], v[124:127]// 0000000056C8: D3F3007C 0DF2A51A
	v_mfma_f32_16x16x32_fp8_fp8 v[124:127], a[28:29], v[84:85], v[124:127]// 0000000056D0: D3F3007C 0DF2A91C
	v_mfma_f32_16x16x32_fp8_fp8 v[124:127], a[30:31], v[86:87], v[124:127]// 0000000056D8: D3F3007C 0DF2AD1E
	v_mov_b32_dpp v64, v42 row_shr:4 row_mask:0xf bank_mask:0xf// 0000000056E0: 7E8002FA FF01142A
	v_mov_b32_dpp v65, v42 row_shl:4 row_mask:0xf bank_mask:0xf// 0000000056E8: 7E8202FA FF01042A
	v_cndmask_b32_e64 v248, v42, v64, s[44:45]                 // 0000000056F0: D10000F8 00B2812A
	v_cndmask_b32_e64 v249, v65, v42, s[44:45]                 // 0000000056F8: D10000F9 00B25541
	v_mov_b32_dpp v64, v248 row_shr:8 row_mask:0xf bank_mask:0xf// 000000005700: 7E8002FA FF0118F8
	v_mov_b32_dpp v65, v248 row_shl:8 row_mask:0xf bank_mask:0xf// 000000005708: 7E8202FA FF0108F8
	v_mov_b32_dpp v66, v249 row_shr:8 row_mask:0xf bank_mask:0xf// 000000005710: 7E8402FA FF0118F9
	v_mov_b32_dpp v67, v249 row_shl:8 row_mask:0xf bank_mask:0xf// 000000005718: 7E8602FA FF0108F9
	v_mov_b32_e32 v68, v248                                    // 000000005720: 7E8803F8
	v_mov_b32_e32 v69, v249                                    // 000000005724: 7E8A03F9
	v_cndmask_b32_e64 v248, v68, v64, s[42:43]                 // 000000005728: D10000F8 00AA8144
	v_cndmask_b32_e64 v250, v68, v65, s[78:79]                 // 000000005730: D10000FA 013A8344
	v_cndmask_b32_e64 v249, v69, v66, s[42:43]                 // 000000005738: D10000F9 00AA8545
	v_cndmask_b32_e64 v251, v69, v67, s[78:79]                 // 000000005740: D10000FB 013A8745
	v_mov_b32_dpp v64, v57 row_shr:4 row_mask:0xf bank_mask:0xf// 000000005748: 7E8002FA FF011439
	v_mov_b32_dpp v65, v57 row_shl:4 row_mask:0xf bank_mask:0xf// 000000005750: 7E8202FA FF010439
	v_cndmask_b32_e64 v252, v57, v64, s[44:45]                 // 000000005758: D10000FC 00B28139
	v_cndmask_b32_e64 v253, v65, v57, s[44:45]                 // 000000005760: D10000FD 00B27341
	v_mov_b32_dpp v64, v252 row_shr:8 row_mask:0xf bank_mask:0xf// 000000005768: 7E8002FA FF0118FC
	v_mov_b32_dpp v65, v252 row_shl:8 row_mask:0xf bank_mask:0xf// 000000005770: 7E8202FA FF0108FC
	v_mov_b32_dpp v66, v253 row_shr:8 row_mask:0xf bank_mask:0xf// 000000005778: 7E8402FA FF0118FD
	v_mov_b32_dpp v67, v253 row_shl:8 row_mask:0xf bank_mask:0xf// 000000005780: 7E8602FA FF0108FD
	v_mov_b32_e32 v68, v252                                    // 000000005788: 7E8803FC
	v_mov_b32_e32 v69, v253                                    // 00000000578C: 7E8A03FD
	v_cndmask_b32_e64 v252, v68, v64, s[42:43]                 // 000000005790: D10000FC 00AA8144
	v_cndmask_b32_e64 v254, v68, v65, s[78:79]                 // 000000005798: D10000FE 013A8344
	v_cndmask_b32_e64 v253, v69, v66, s[42:43]                 // 0000000057A0: D10000FD 00AA8545
	v_cndmask_b32_e64 v255, v69, v67, s[78:79]                 // 0000000057A8: D10000FF 013A8745
	v_mul_f32_e32 v112, v18, v112                              // 0000000057B0: 0AE0E112
	v_mul_f32_e32 v113, v18, v113                              // 0000000057B4: 0AE2E312
	v_mul_f32_e32 v114, v18, v114                              // 0000000057B8: 0AE4E512
	v_mul_f32_e32 v115, v18, v115                              // 0000000057BC: 0AE6E712
	v_mul_f32_e32 v116, v18, v116                              // 0000000057C0: 0AE8E912
	v_mul_f32_e32 v117, v18, v117                              // 0000000057C4: 0AEAEB12
	v_mul_f32_e32 v118, v18, v118                              // 0000000057C8: 0AECED12
	v_mul_f32_e32 v119, v18, v119                              // 0000000057CC: 0AEEEF12
	v_mul_f32_e32 v120, v18, v120                              // 0000000057D0: 0AF0F112
	v_mul_f32_e32 v121, v18, v121                              // 0000000057D4: 0AF2F312
	v_mul_f32_e32 v122, v18, v122                              // 0000000057D8: 0AF4F512
	v_mul_f32_e32 v123, v18, v123                              // 0000000057DC: 0AF6F712
	v_mul_f32_e32 v124, v18, v124                              // 0000000057E0: 0AF8F912
	v_mul_f32_e32 v125, v18, v125                              // 0000000057E4: 0AFAFB12
	v_mul_f32_e32 v126, v18, v126                              // 0000000057E8: 0AFCFD12
	v_mul_f32_e32 v127, v18, v127                              // 0000000057EC: 0AFEFF12
	v_mul_f32_dpp v112, v248, v112 quad_perm:[0,0,0,0] row_mask:0xf bank_mask:0xf// 0000000057F0: 0AE0E0FA FF0000F8
	v_mul_f32_dpp v113, v248, v113 quad_perm:[1,1,1,1] row_mask:0xf bank_mask:0xf// 0000000057F8: 0AE2E2FA FF0055F8
	v_mul_f32_dpp v114, v248, v114 quad_perm:[2,2,2,2] row_mask:0xf bank_mask:0xf// 000000005800: 0AE4E4FA FF00AAF8
	v_mul_f32_dpp v115, v248, v115 quad_perm:[3,3,3,3] row_mask:0xf bank_mask:0xf// 000000005808: 0AE6E6FA FF00FFF8
	v_mul_f32_dpp v116, v249, v116 quad_perm:[0,0,0,0] row_mask:0xf bank_mask:0xf// 000000005810: 0AE8E8FA FF0000F9
	v_mul_f32_dpp v117, v249, v117 quad_perm:[1,1,1,1] row_mask:0xf bank_mask:0xf// 000000005818: 0AEAEAFA FF0055F9
	v_mul_f32_dpp v118, v249, v118 quad_perm:[2,2,2,2] row_mask:0xf bank_mask:0xf// 000000005820: 0AECECFA FF00AAF9
	v_mul_f32_dpp v119, v249, v119 quad_perm:[3,3,3,3] row_mask:0xf bank_mask:0xf// 000000005828: 0AEEEEFA FF00FFF9
	v_mul_f32_dpp v120, v250, v120 quad_perm:[0,0,0,0] row_mask:0xf bank_mask:0xf// 000000005830: 0AF0F0FA FF0000FA
	v_mul_f32_dpp v121, v250, v121 quad_perm:[1,1,1,1] row_mask:0xf bank_mask:0xf// 000000005838: 0AF2F2FA FF0055FA
	v_mul_f32_dpp v122, v250, v122 quad_perm:[2,2,2,2] row_mask:0xf bank_mask:0xf// 000000005840: 0AF4F4FA FF00AAFA
	v_mul_f32_dpp v123, v250, v123 quad_perm:[3,3,3,3] row_mask:0xf bank_mask:0xf// 000000005848: 0AF6F6FA FF00FFFA
	v_mul_f32_dpp v124, v251, v124 quad_perm:[0,0,0,0] row_mask:0xf bank_mask:0xf// 000000005850: 0AF8F8FA FF0000FB
	v_mul_f32_dpp v125, v251, v125 quad_perm:[1,1,1,1] row_mask:0xf bank_mask:0xf// 000000005858: 0AFAFAFA FF0055FB
	v_mul_f32_dpp v126, v251, v126 quad_perm:[2,2,2,2] row_mask:0xf bank_mask:0xf// 000000005860: 0AFCFCFA FF00AAFB
	v_mul_f32_dpp v127, v251, v127 quad_perm:[3,3,3,3] row_mask:0xf bank_mask:0xf// 000000005868: 0AFEFEFA FF00FFFB
	s_cmp_le_i32 s90, s89                                      // 000000005870: BF05595A
	s_cbranch_scc1 label_0E0F                                  // 000000005874: BF850071
	v_mov_b32_e32 v66, 0xff800000                              // 000000005878: 7E8402FF FF800000
	s_mov_b32 s60, s90                                         // 000000005880: BEBC005A
	s_add_u32 s61, s89, 0xff                                   // 000000005884: 803DFF59 000000FF
	v_mov_b32_e32 v64, s61                                     // 00000000588C: 7E80023D
	v_lshrrev_b32_e32 v240, 4, v0                              // 000000005890: 21E00084
	v_mul_i32_i24_e32 v240, 4, v240                            // 000000005894: 0DE1E084
	v_add_u32_e32 v240, s60, v240                              // 000000005898: 69E1E03C
	s_mov_b32 s61, 0                                           // 00000000589C: BEBD0080
	s_mul_i32 s60, 16, s7                                      // 0000000058A0: 923C0790
	v_sub_u32_e64 v240, v240, s61                              // 0000000058A4: D13500F0 00007BF0
	v_add_u32_e32 v240, s60, v240                              // 0000000058AC: 69E1E03C
	v_add_u32_e32 v241, 1, v240                                // 0000000058B0: 69E3E081
	v_add_u32_e32 v242, 2, v240                                // 0000000058B4: 69E5E082
	v_add_u32_e32 v243, 3, v240                                // 0000000058B8: 69E7E083
	v_cmp_le_u32_e64 s[40:41], v240, v64                       // 0000000058BC: D0CB0028 000281F0
	v_add_u32_e32 v240, 64, v240                               // 0000000058C4: 69E1E0C0
	s_nop 0                                                    // 0000000058C8: BF800000
	v_cndmask_b32_e64 v112, v66, v112, s[40:41]                // 0000000058CC: D1000070 00A2E142
	v_cmp_le_u32_e64 s[40:41], v241, v64                       // 0000000058D4: D0CB0028 000281F1
	v_add_u32_e32 v241, 64, v241                               // 0000000058DC: 69E3E2C0
	s_nop 0                                                    // 0000000058E0: BF800000
	v_cndmask_b32_e64 v113, v66, v113, s[40:41]                // 0000000058E4: D1000071 00A2E342
	v_cmp_le_u32_e64 s[40:41], v242, v64                       // 0000000058EC: D0CB0028 000281F2
	v_add_u32_e32 v242, 64, v242                               // 0000000058F4: 69E5E4C0
	s_nop 0                                                    // 0000000058F8: BF800000
	v_cndmask_b32_e64 v114, v66, v114, s[40:41]                // 0000000058FC: D1000072 00A2E542
	v_cmp_le_u32_e64 s[40:41], v243, v64                       // 000000005904: D0CB0028 000281F3
	v_add_u32_e32 v243, 64, v243                               // 00000000590C: 69E7E6C0
	s_nop 0                                                    // 000000005910: BF800000
	v_cndmask_b32_e64 v115, v66, v115, s[40:41]                // 000000005914: D1000073 00A2E742
	v_cmp_le_u32_e64 s[40:41], v240, v64                       // 00000000591C: D0CB0028 000281F0
	v_add_u32_e32 v240, 64, v240                               // 000000005924: 69E1E0C0
	s_nop 0                                                    // 000000005928: BF800000
	v_cndmask_b32_e64 v116, v66, v116, s[40:41]                // 00000000592C: D1000074 00A2E942
	v_cmp_le_u32_e64 s[40:41], v241, v64                       // 000000005934: D0CB0028 000281F1
	v_add_u32_e32 v241, 64, v241                               // 00000000593C: 69E3E2C0
	s_nop 0                                                    // 000000005940: BF800000
	v_cndmask_b32_e64 v117, v66, v117, s[40:41]                // 000000005944: D1000075 00A2EB42
	v_cmp_le_u32_e64 s[40:41], v242, v64                       // 00000000594C: D0CB0028 000281F2
	v_add_u32_e32 v242, 64, v242                               // 000000005954: 69E5E4C0
	s_nop 0                                                    // 000000005958: BF800000
	v_cndmask_b32_e64 v118, v66, v118, s[40:41]                // 00000000595C: D1000076 00A2ED42
	v_cmp_le_u32_e64 s[40:41], v243, v64                       // 000000005964: D0CB0028 000281F3
	v_add_u32_e32 v243, 64, v243                               // 00000000596C: 69E7E6C0
	s_nop 0                                                    // 000000005970: BF800000
	v_cndmask_b32_e64 v119, v66, v119, s[40:41]                // 000000005974: D1000077 00A2EF42
	v_cmp_le_u32_e64 s[40:41], v240, v64                       // 00000000597C: D0CB0028 000281F0
	v_add_u32_e32 v240, 64, v240                               // 000000005984: 69E1E0C0
	s_nop 0                                                    // 000000005988: BF800000
	v_cndmask_b32_e64 v120, v66, v120, s[40:41]                // 00000000598C: D1000078 00A2F142
	v_cmp_le_u32_e64 s[40:41], v241, v64                       // 000000005994: D0CB0028 000281F1
	v_add_u32_e32 v241, 64, v241                               // 00000000599C: 69E3E2C0
	s_nop 0                                                    // 0000000059A0: BF800000
	v_cndmask_b32_e64 v121, v66, v121, s[40:41]                // 0000000059A4: D1000079 00A2F342
	v_cmp_le_u32_e64 s[40:41], v242, v64                       // 0000000059AC: D0CB0028 000281F2
	v_add_u32_e32 v242, 64, v242                               // 0000000059B4: 69E5E4C0
	s_nop 0                                                    // 0000000059B8: BF800000
	v_cndmask_b32_e64 v122, v66, v122, s[40:41]                // 0000000059BC: D100007A 00A2F542
	v_cmp_le_u32_e64 s[40:41], v243, v64                       // 0000000059C4: D0CB0028 000281F3
	v_add_u32_e32 v243, 64, v243                               // 0000000059CC: 69E7E6C0
	s_nop 0                                                    // 0000000059D0: BF800000
	v_cndmask_b32_e64 v123, v66, v123, s[40:41]                // 0000000059D4: D100007B 00A2F742
	v_cmp_le_u32_e64 s[40:41], v240, v64                       // 0000000059DC: D0CB0028 000281F0
	v_add_u32_e32 v240, 64, v240                               // 0000000059E4: 69E1E0C0
	s_nop 0                                                    // 0000000059E8: BF800000
	v_cndmask_b32_e64 v124, v66, v124, s[40:41]                // 0000000059EC: D100007C 00A2F942
	v_cmp_le_u32_e64 s[40:41], v241, v64                       // 0000000059F4: D0CB0028 000281F1
	v_add_u32_e32 v241, 64, v241                               // 0000000059FC: 69E3E2C0
	s_nop 0                                                    // 000000005A00: BF800000
	v_cndmask_b32_e64 v125, v66, v125, s[40:41]                // 000000005A04: D100007D 00A2FB42
	v_cmp_le_u32_e64 s[40:41], v242, v64                       // 000000005A0C: D0CB0028 000281F2
	v_add_u32_e32 v242, 64, v242                               // 000000005A14: 69E5E4C0
	s_nop 0                                                    // 000000005A18: BF800000
	v_cndmask_b32_e64 v126, v66, v126, s[40:41]                // 000000005A1C: D100007E 00A2FD42
	v_cmp_le_u32_e64 s[40:41], v243, v64                       // 000000005A24: D0CB0028 000281F3
	v_add_u32_e32 v243, 64, v243                               // 000000005A2C: 69E7E6C0
	s_nop 0                                                    // 000000005A30: BF800000
	v_cndmask_b32_e64 v127, v66, v127, s[40:41]                // 000000005A34: D100007F 00A2FF42

0000000000005a3c <label_0E0F>:
	s_add_u32 s90, s91, s90                                    // 000000005A3C: 805A5A5B
	s_and_b32 s60, s72, 0xff                                   // 000000005A40: 863CFF48 000000FF
	v_mov_b32_e32 v65, s60                                     // 000000005A48: 7E82023C
	v_lshrrev_b32_e32 v240, 4, v0                              // 000000005A4C: 21E00084
	v_mul_i32_i24_e32 v240, 4, v240                            // 000000005A50: 0DE1E084
	s_mul_i32 s60, s7, 16                                      // 000000005A54: 923C9007
	v_add_u32_e32 v240, s60, v240                              // 000000005A58: 69E1E03C
	v_add_u32_e32 v241, 1, v240                                // 000000005A5C: 69E3E081
	v_add_u32_e32 v242, 2, v240                                // 000000005A60: 69E5E082
	v_add_u32_e32 v243, 3, v240                                // 000000005A64: 69E7E083
	v_mov_b32_e32 v64, 0xff800000                              // 000000005A68: 7E8002FF FF800000
	v_cmp_lt_u32_e64 s[40:41], v240, v65                       // 000000005A70: D0C90028 000283F0
	v_add_u32_e32 v240, 64, v240                               // 000000005A78: 69E1E0C0
	s_nop 0                                                    // 000000005A7C: BF800000
	v_cndmask_b32_e64 v112, v64, v112, s[40:41]                // 000000005A80: D1000070 00A2E140
	v_cmp_lt_u32_e64 s[40:41], v241, v65                       // 000000005A88: D0C90028 000283F1
	v_add_u32_e32 v241, 64, v241                               // 000000005A90: 69E3E2C0
	s_nop 0                                                    // 000000005A94: BF800000
	v_cndmask_b32_e64 v113, v64, v113, s[40:41]                // 000000005A98: D1000071 00A2E340
	v_cmp_lt_u32_e64 s[40:41], v242, v65                       // 000000005AA0: D0C90028 000283F2
	v_add_u32_e32 v242, 64, v242                               // 000000005AA8: 69E5E4C0
	s_nop 0                                                    // 000000005AAC: BF800000
	v_cndmask_b32_e64 v114, v64, v114, s[40:41]                // 000000005AB0: D1000072 00A2E540
	v_cmp_lt_u32_e64 s[40:41], v243, v65                       // 000000005AB8: D0C90028 000283F3
	v_add_u32_e32 v243, 64, v243                               // 000000005AC0: 69E7E6C0
	s_nop 0                                                    // 000000005AC4: BF800000
	v_cndmask_b32_e64 v115, v64, v115, s[40:41]                // 000000005AC8: D1000073 00A2E740
	v_cmp_lt_u32_e64 s[40:41], v240, v65                       // 000000005AD0: D0C90028 000283F0
	v_add_u32_e32 v240, 64, v240                               // 000000005AD8: 69E1E0C0
	s_nop 0                                                    // 000000005ADC: BF800000
	v_cndmask_b32_e64 v116, v64, v116, s[40:41]                // 000000005AE0: D1000074 00A2E940
	v_cmp_lt_u32_e64 s[40:41], v241, v65                       // 000000005AE8: D0C90028 000283F1
	v_add_u32_e32 v241, 64, v241                               // 000000005AF0: 69E3E2C0
	s_nop 0                                                    // 000000005AF4: BF800000
	v_cndmask_b32_e64 v117, v64, v117, s[40:41]                // 000000005AF8: D1000075 00A2EB40
	v_cmp_lt_u32_e64 s[40:41], v242, v65                       // 000000005B00: D0C90028 000283F2
	v_add_u32_e32 v242, 64, v242                               // 000000005B08: 69E5E4C0
	s_nop 0                                                    // 000000005B0C: BF800000
	v_cndmask_b32_e64 v118, v64, v118, s[40:41]                // 000000005B10: D1000076 00A2ED40
	v_cmp_lt_u32_e64 s[40:41], v243, v65                       // 000000005B18: D0C90028 000283F3
	v_add_u32_e32 v243, 64, v243                               // 000000005B20: 69E7E6C0
	s_nop 0                                                    // 000000005B24: BF800000
	v_cndmask_b32_e64 v119, v64, v119, s[40:41]                // 000000005B28: D1000077 00A2EF40
	v_cmp_lt_u32_e64 s[40:41], v240, v65                       // 000000005B30: D0C90028 000283F0
	v_add_u32_e32 v240, 64, v240                               // 000000005B38: 69E1E0C0
	s_nop 0                                                    // 000000005B3C: BF800000
	v_cndmask_b32_e64 v120, v64, v120, s[40:41]                // 000000005B40: D1000078 00A2F140
	v_cmp_lt_u32_e64 s[40:41], v241, v65                       // 000000005B48: D0C90028 000283F1
	v_add_u32_e32 v241, 64, v241                               // 000000005B50: 69E3E2C0
	s_nop 0                                                    // 000000005B54: BF800000
	v_cndmask_b32_e64 v121, v64, v121, s[40:41]                // 000000005B58: D1000079 00A2F340
	v_cmp_lt_u32_e64 s[40:41], v242, v65                       // 000000005B60: D0C90028 000283F2
	v_add_u32_e32 v242, 64, v242                               // 000000005B68: 69E5E4C0
	s_nop 0                                                    // 000000005B6C: BF800000
	v_cndmask_b32_e64 v122, v64, v122, s[40:41]                // 000000005B70: D100007A 00A2F540
	v_cmp_lt_u32_e64 s[40:41], v243, v65                       // 000000005B78: D0C90028 000283F3
	v_add_u32_e32 v243, 64, v243                               // 000000005B80: 69E7E6C0
	s_nop 0                                                    // 000000005B84: BF800000
	v_cndmask_b32_e64 v123, v64, v123, s[40:41]                // 000000005B88: D100007B 00A2F740
	v_cmp_lt_u32_e64 s[40:41], v240, v65                       // 000000005B90: D0C90028 000283F0
	v_add_u32_e32 v240, 64, v240                               // 000000005B98: 69E1E0C0
	s_nop 0                                                    // 000000005B9C: BF800000
	v_cndmask_b32_e64 v124, v64, v124, s[40:41]                // 000000005BA0: D100007C 00A2F940
	v_cmp_lt_u32_e64 s[40:41], v241, v65                       // 000000005BA8: D0C90028 000283F1
	v_add_u32_e32 v241, 64, v241                               // 000000005BB0: 69E3E2C0
	s_nop 0                                                    // 000000005BB4: BF800000
	v_cndmask_b32_e64 v125, v64, v125, s[40:41]                // 000000005BB8: D100007D 00A2FB40
	v_cmp_lt_u32_e64 s[40:41], v242, v65                       // 000000005BC0: D0C90028 000283F2
	v_add_u32_e32 v242, 64, v242                               // 000000005BC8: 69E5E4C0
	s_nop 0                                                    // 000000005BCC: BF800000
	v_cndmask_b32_e64 v126, v64, v126, s[40:41]                // 000000005BD0: D100007E 00A2FD40
	v_cmp_lt_u32_e64 s[40:41], v243, v65                       // 000000005BD8: D0C90028 000283F3
	v_add_u32_e32 v243, 64, v243                               // 000000005BE0: 69E7E6C0
	s_nop 0                                                    // 000000005BE4: BF800000
	v_cndmask_b32_e64 v127, v64, v127, s[40:41]                // 000000005BE8: D100007F 00A2FF40
	v_mov_b32_e32 v48, v112                                    // 000000005BF0: 7E600370
	v_max3_f32 v48, v112, v113, v48                            // 000000005BF4: D1D30030 04C2E370
	v_max3_f32 v48, v114, v115, v48                            // 000000005BFC: D1D30030 04C2E772
	v_max3_f32 v48, v116, v117, v48                            // 000000005C04: D1D30030 04C2EB74
	v_max3_f32 v48, v118, v119, v48                            // 000000005C0C: D1D30030 04C2EF76
	v_max3_f32 v48, v120, v121, v48                            // 000000005C14: D1D30030 04C2F378
	v_max3_f32 v48, v122, v123, v48                            // 000000005C1C: D1D30030 04C2F77A
	v_max3_f32 v48, v124, v125, v48                            // 000000005C24: D1D30030 04C2FB7C
	v_max3_f32 v48, v126, v127, v48                            // 000000005C2C: D1D30030 04C2FF7E
	ds_write_b32 v8, v48 offset:16896                          // 000000005C34: D81A4200 00003008
	v_mul_u32_u24_dpp v64, v17, v54 row_newbcast:1 row_mask:0xf bank_mask:0xf// 000000005C3C: 10806CFA FF015111
	v_mul_u32_u24_dpp v65, v17, v54 row_newbcast:5 row_mask:0xf bank_mask:0xf// 000000005C44: 10826CFA FF015511
	v_mul_u32_u24_dpp v66, v17, v54 row_newbcast:9 row_mask:0xf bank_mask:0xf// 000000005C4C: 10846CFA FF015911
	v_mul_u32_u24_dpp v67, v17, v54 row_newbcast:13 row_mask:0xf bank_mask:0xf// 000000005C54: 10866CFA FF015D11
	v_add_u32_e32 v34, v64, v6                                 // 000000005C5C: 68440D40
	v_add_u32_e32 v35, v65, v6                                 // 000000005C60: 68460D41
	v_add_u32_e32 v36, v66, v6                                 // 000000005C64: 68480D42
	v_add_u32_e32 v37, v67, v6                                 // 000000005C68: 684A0D43
	v_mul_f32_e32 v208, v49, v208                              // 000000005C6C: 0BA1A131
	v_mul_f32_e32 v209, v49, v209                              // 000000005C70: 0BA3A331
	v_mul_f32_e32 v210, v49, v210                              // 000000005C74: 0BA5A531
	v_mul_f32_e32 v211, v49, v211                              // 000000005C78: 0BA7A731
	v_mul_f32_e32 v212, v49, v212                              // 000000005C7C: 0BA9A931
	v_mul_f32_e32 v213, v49, v213                              // 000000005C80: 0BABAB31
	v_mul_f32_e32 v214, v49, v214                              // 000000005C84: 0BADAD31
	v_mul_f32_e32 v215, v49, v215                              // 000000005C88: 0BAFAF31
	s_waitcnt lgkmcnt(0)                                       // 000000005C8C: BF8CC07F
	s_barrier                                                  // 000000005C90: BF8A0000
	ds_read_b32 v64, v7 offset:16896                           // 000000005C94: D86C4200 40000007
	ds_read_b32 v65, v7 offset:16960                           // 000000005C9C: D86C4240 41000007
	ds_read_b32 v66, v7 offset:17024                           // 000000005CA4: D86C4280 42000007
	ds_read_b32 v67, v7 offset:17088                           // 000000005CAC: D86C42C0 43000007
	ds_read_b32 v68, v7 offset:17152                           // 000000005CB4: D86C4300 44000007
	ds_read_b32 v69, v7 offset:17216                           // 000000005CBC: D86C4340 45000007
	ds_read_b32 v70, v7 offset:17280                           // 000000005CC4: D86C4380 46000007
	ds_read_b32 v71, v7 offset:17344                           // 000000005CCC: D86C43C0 47000007
	ds_read_b32 v72, v7 offset:17408                           // 000000005CD4: D86C4400 48000007
	ds_read_b32 v73, v7 offset:17472                           // 000000005CDC: D86C4440 49000007
	ds_read_b32 v74, v7 offset:17536                           // 000000005CE4: D86C4480 4A000007
	ds_read_b32 v75, v7 offset:17600                           // 000000005CEC: D86C44C0 4B000007
	ds_read_b32 v76, v7 offset:17664                           // 000000005CF4: D86C4500 4C000007
	ds_read_b32 v77, v7 offset:17728                           // 000000005CFC: D86C4540 4D000007
	ds_read_b32 v78, v7 offset:17792                           // 000000005D04: D86C4580 4E000007
	ds_read_b32 v79, v7 offset:17856                           // 000000005D0C: D86C45C0 4F000007
	v_mul_f32_e32 v176, v44, v176                              // 000000005D14: 0B61612C
	v_mul_f32_e32 v177, v44, v177                              // 000000005D18: 0B63632C
	v_mul_f32_e32 v178, v44, v178                              // 000000005D1C: 0B65652C
	v_mul_f32_e32 v179, v44, v179                              // 000000005D20: 0B67672C
	v_mul_f32_e32 v180, v44, v180                              // 000000005D24: 0B69692C
	v_mul_f32_e32 v181, v44, v181                              // 000000005D28: 0B6B6B2C
	v_mul_f32_e32 v182, v44, v182                              // 000000005D2C: 0B6D6D2C
	v_mul_f32_e32 v183, v44, v183                              // 000000005D30: 0B6F6F2C
	s_waitcnt lgkmcnt(0)                                       // 000000005D34: BF8CC07F
	v_max3_f32 v48, v64, v65, v48                              // 000000005D38: D1D30030 04C28340
	v_max3_f32 v48, v66, v67, v48                              // 000000005D40: D1D30030 04C28742
	v_max3_f32 v48, v68, v69, v48                              // 000000005D48: D1D30030 04C28B44
	v_max3_f32 v48, v70, v71, v48                              // 000000005D50: D1D30030 04C28F46
	v_max3_f32 v48, v72, v73, v48                              // 000000005D58: D1D30030 04C29348
	v_max3_f32 v48, v74, v75, v48                              // 000000005D60: D1D30030 04C2974A
	v_max3_f32 v48, v76, v77, v48                              // 000000005D68: D1D30030 04C29B4C
	v_max3_f32 v48, v78, v79, v48                              // 000000005D70: D1D30030 04C29F4E
	v_mov_b32_e32 v64, 0xff800000                              // 000000005D78: 7E8002FF FF800000
	v_cmp_eq_u32_e64 s[40:41], v64, v11                        // 000000005D80: D0CA0028 00021740
	s_nop 1                                                    // 000000005D88: BF800001
	v_max_f32_e32 v15, v48, v11                                // 000000005D8C: 161E1730
	v_mul_f32_e32 v53, s64, v15                                // 000000005D90: 0A6A1E40
	v_fma_f32 v112, v112, s64, -v53                            // 000000005D94: D1CB0070 84D48170
	v_fma_f32 v113, v113, s64, -v53                            // 000000005D9C: D1CB0071 84D48171
	v_fma_f32 v114, v114, s64, -v53                            // 000000005DA4: D1CB0072 84D48172
	v_fma_f32 v115, v115, s64, -v53                            // 000000005DAC: D1CB0073 84D48173
	v_fma_f32 v116, v116, s64, -v53                            // 000000005DB4: D1CB0074 84D48174
	v_fma_f32 v117, v117, s64, -v53                            // 000000005DBC: D1CB0075 84D48175
	v_fma_f32 v118, v118, s64, -v53                            // 000000005DC4: D1CB0076 84D48176
	v_fma_f32 v119, v119, s64, -v53                            // 000000005DCC: D1CB0077 84D48177
	v_fma_f32 v120, v120, s64, -v53                            // 000000005DD4: D1CB0078 84D48178
	v_fma_f32 v121, v121, s64, -v53                            // 000000005DDC: D1CB0079 84D48179
	v_fma_f32 v122, v122, s64, -v53                            // 000000005DE4: D1CB007A 84D4817A
	v_fma_f32 v123, v123, s64, -v53                            // 000000005DEC: D1CB007B 84D4817B
	v_fma_f32 v124, v124, s64, -v53                            // 000000005DF4: D1CB007C 84D4817C
	v_fma_f32 v125, v125, s64, -v53                            // 000000005DFC: D1CB007D 84D4817D
	v_fma_f32 v126, v126, s64, -v53                            // 000000005E04: D1CB007E 84D4817E
	v_fma_f32 v127, v127, s64, -v53                            // 000000005E0C: D1CB007F 84D4817F
	v_exp_f32_e32 v112, v112                                   // 000000005E14: 7EE04170
	v_exp_f32_e32 v113, v113                                   // 000000005E18: 7EE24171
	v_exp_f32_e32 v114, v114                                   // 000000005E1C: 7EE44172
	v_exp_f32_e32 v115, v115                                   // 000000005E20: 7EE64173
	v_exp_f32_e32 v116, v116                                   // 000000005E24: 7EE84174
	v_exp_f32_e32 v117, v117                                   // 000000005E28: 7EEA4175
	v_exp_f32_e32 v118, v118                                   // 000000005E2C: 7EEC4176
	v_exp_f32_e32 v119, v119                                   // 000000005E30: 7EEE4177
	v_exp_f32_e32 v120, v120                                   // 000000005E34: 7EF04178
	v_exp_f32_e32 v121, v121                                   // 000000005E38: 7EF24179
	v_exp_f32_e32 v122, v122                                   // 000000005E3C: 7EF4417A
	v_exp_f32_e32 v123, v123                                   // 000000005E40: 7EF6417B
	v_exp_f32_e32 v124, v124                                   // 000000005E44: 7EF8417C
	v_exp_f32_e32 v125, v125                                   // 000000005E48: 7EFA417D
	v_exp_f32_e32 v126, v126                                   // 000000005E4C: 7EFC417E
	v_exp_f32_e32 v127, v127                                   // 000000005E50: 7EFE417F
	v_mul_f32_dpp v240, v252, v112 quad_perm:[0,0,0,0] row_mask:0xf bank_mask:0xf// 000000005E54: 0BE0E0FA FF0000FC
	v_mul_f32_dpp v241, v252, v113 quad_perm:[1,1,1,1] row_mask:0xf bank_mask:0xf// 000000005E5C: 0BE2E2FA FF0055FC
	v_mul_f32_dpp v242, v252, v114 quad_perm:[2,2,2,2] row_mask:0xf bank_mask:0xf// 000000005E64: 0BE4E4FA FF00AAFC
	v_mul_f32_dpp v243, v252, v115 quad_perm:[3,3,3,3] row_mask:0xf bank_mask:0xf// 000000005E6C: 0BE6E6FA FF00FFFC
	v_mul_f32_dpp v244, v253, v116 quad_perm:[0,0,0,0] row_mask:0xf bank_mask:0xf// 000000005E74: 0BE8E8FA FF0000FD
	v_mul_f32_dpp v245, v253, v117 quad_perm:[1,1,1,1] row_mask:0xf bank_mask:0xf// 000000005E7C: 0BEAEAFA FF0055FD
	v_mul_f32_dpp v246, v253, v118 quad_perm:[2,2,2,2] row_mask:0xf bank_mask:0xf// 000000005E84: 0BECECFA FF00AAFD
	v_mul_f32_dpp v247, v253, v119 quad_perm:[3,3,3,3] row_mask:0xf bank_mask:0xf// 000000005E8C: 0BEEEEFA FF00FFFD
	v_mul_f32_dpp v248, v254, v120 quad_perm:[0,0,0,0] row_mask:0xf bank_mask:0xf// 000000005E94: 0BF0F0FA FF0000FE
	v_mul_f32_dpp v249, v254, v121 quad_perm:[1,1,1,1] row_mask:0xf bank_mask:0xf// 000000005E9C: 0BF2F2FA FF0055FE
	v_mul_f32_dpp v250, v254, v122 quad_perm:[2,2,2,2] row_mask:0xf bank_mask:0xf// 000000005EA4: 0BF4F4FA FF00AAFE
	v_mul_f32_dpp v251, v254, v123 quad_perm:[3,3,3,3] row_mask:0xf bank_mask:0xf// 000000005EAC: 0BF6F6FA FF00FFFE
	v_mul_f32_dpp v252, v255, v124 quad_perm:[0,0,0,0] row_mask:0xf bank_mask:0xf// 000000005EB4: 0BF8F8FA FF0000FF
	v_mul_f32_dpp v253, v255, v125 quad_perm:[1,1,1,1] row_mask:0xf bank_mask:0xf// 000000005EBC: 0BFAFAFA FF0055FF
	v_mul_f32_dpp v254, v255, v126 quad_perm:[2,2,2,2] row_mask:0xf bank_mask:0xf// 000000005EC4: 0BFCFCFA FF00AAFF
	v_mul_f32_dpp v255, v255, v127 quad_perm:[3,3,3,3] row_mask:0xf bank_mask:0xf// 000000005ECC: 0BFEFEFA FF00FFFF
	v_mov_b32_e32 v48, 0x358637bd                              // 000000005ED4: 7E6002FF 358637BD
	v_max3_f32 v48, |v240|, |v241|, v48                        // 000000005EDC: D1D30330 04C3E3F0
	v_max3_f32 v48, |v242|, |v243|, v48                        // 000000005EE4: D1D30330 04C3E7F2
	v_max3_f32 v48, |v244|, |v245|, v48                        // 000000005EEC: D1D30330 04C3EBF4
	v_max3_f32 v48, |v246|, |v247|, v48                        // 000000005EF4: D1D30330 04C3EFF6
	v_max3_f32 v48, |v248|, |v249|, v48                        // 000000005EFC: D1D30330 04C3F3F8
	v_max3_f32 v48, |v250|, |v251|, v48                        // 000000005F04: D1D30330 04C3F7FA
	v_max3_f32 v48, |v252|, |v253|, v48                        // 000000005F0C: D1D30330 04C3FBFC
	v_max3_f32 v48, |v254|, |v255|, v48                        // 000000005F14: D1D30330 04C3FFFE
	ds_write_b32 v8, v48 offset:20992                          // 000000005F1C: D81A5200 00003008
	v_sub_f32_e32 v49, v11, v15                                // 000000005F24: 04621F0B
	v_cndmask_b32_e64 v49, v49, 0, s[40:41]                    // 000000005F28: D1000031 00A10131
	v_mov_b32_e32 v11, v15                                     // 000000005F30: 7E16030F
	v_mul_f32_e32 v49, s64, v49                                // 000000005F34: 0A626240
	v_exp_f32_e32 v49, v49                                     // 000000005F38: 7E624131
	s_waitcnt lgkmcnt(0)                                       // 000000005F3C: BF8CC07F
	s_barrier                                                  // 000000005F40: BF8A0000
	ds_read_b32 v64, v7 offset:20992                           // 000000005F44: D86C5200 40000007
	ds_read_b32 v65, v7 offset:21056                           // 000000005F4C: D86C5240 41000007
	ds_read_b32 v66, v7 offset:21120                           // 000000005F54: D86C5280 42000007
	ds_read_b32 v67, v7 offset:21184                           // 000000005F5C: D86C52C0 43000007
	ds_read_b32 v68, v7 offset:21248                           // 000000005F64: D86C5300 44000007
	ds_read_b32 v69, v7 offset:21312                           // 000000005F6C: D86C5340 45000007
	ds_read_b32 v70, v7 offset:21376                           // 000000005F74: D86C5380 46000007
	ds_read_b32 v71, v7 offset:21440                           // 000000005F7C: D86C53C0 47000007
	ds_read_b32 v72, v7 offset:21504                           // 000000005F84: D86C5400 48000007
	ds_read_b32 v73, v7 offset:21568                           // 000000005F8C: D86C5440 49000007
	ds_read_b32 v74, v7 offset:21632                           // 000000005F94: D86C5480 4A000007
	ds_read_b32 v75, v7 offset:21696                           // 000000005F9C: D86C54C0 4B000007
	ds_read_b32 v76, v7 offset:21760                           // 000000005FA4: D86C5500 4C000007
	ds_read_b32 v77, v7 offset:21824                           // 000000005FAC: D86C5540 4D000007
	ds_read_b32 v78, v7 offset:21888                           // 000000005FB4: D86C5580 4E000007
	ds_read_b32 v79, v7 offset:21952                           // 000000005FBC: D86C55C0 4F000007
	v_mul_f32_e32 v38, v49, v38                                // 000000005FC4: 0A4C4D31
	v_mov_b32_e32 v15, v112                                    // 000000005FC8: 7E1E0370
	v_add_f32_e32 v15, v113, v15                               // 000000005FCC: 021E1F71
	v_add_f32_e32 v15, v114, v15                               // 000000005FD0: 021E1F72
	v_add_f32_e32 v15, v115, v15                               // 000000005FD4: 021E1F73
	v_add_f32_e32 v15, v116, v15                               // 000000005FD8: 021E1F74
	v_add_f32_e32 v15, v117, v15                               // 000000005FDC: 021E1F75
	v_add_f32_e32 v15, v118, v15                               // 000000005FE0: 021E1F76
	v_add_f32_e32 v15, v119, v15                               // 000000005FE4: 021E1F77
	v_add_f32_e32 v15, v120, v15                               // 000000005FE8: 021E1F78
	v_add_f32_e32 v15, v121, v15                               // 000000005FEC: 021E1F79
	v_add_f32_e32 v15, v122, v15                               // 000000005FF0: 021E1F7A
	v_add_f32_e32 v15, v123, v15                               // 000000005FF4: 021E1F7B
	v_add_f32_e32 v15, v124, v15                               // 000000005FF8: 021E1F7C
	v_add_f32_e32 v15, v125, v15                               // 000000005FFC: 021E1F7D
	v_add_f32_e32 v15, v126, v15                               // 000000006000: 021E1F7E
	v_add_f32_e32 v15, v127, v15                               // 000000006004: 021E1F7F
	v_add_f32_e32 v38, v15, v38                                // 000000006008: 024C4D0F
	s_waitcnt lgkmcnt(0)                                       // 00000000600C: BF8CC07F
	v_max3_f32 v48, |v64|, |v65|, v48                          // 000000006010: D1D30330 04C28340
	v_max3_f32 v48, |v66|, |v67|, v48                          // 000000006018: D1D30330 04C28742
	v_max3_f32 v48, |v68|, |v69|, v48                          // 000000006020: D1D30330 04C28B44
	v_max3_f32 v48, |v70|, |v71|, v48                          // 000000006028: D1D30330 04C28F46
	v_max3_f32 v48, |v72|, |v73|, v48                          // 000000006030: D1D30330 04C29348
	v_max3_f32 v48, |v74|, |v75|, v48                          // 000000006038: D1D30330 04C2974A
	v_max3_f32 v48, |v76|, |v77|, v48                          // 000000006040: D1D30330 04C29B4C
	v_max3_f32 v48, |v78|, |v79|, v48                          // 000000006048: D1D30330 04C29F4E
	s_nop 2                                                    // 000000006050: BF800002
	v_rcp_f32_e32 v48, v48                                     // 000000006054: 7E604530
	s_nop 1                                                    // 000000006058: BF800001
	v_mul_f32_e32 v48, 0x43e00000, v48                         // 00000000605C: 0A6060FF 43E00000
	v_mul_f32_e32 v112, v48, v240                              // 000000006064: 0AE1E130
	v_mul_f32_e32 v113, v48, v241                              // 000000006068: 0AE3E330
	v_mul_f32_e32 v114, v48, v242                              // 00000000606C: 0AE5E530
	v_mul_f32_e32 v115, v48, v243                              // 000000006070: 0AE7E730
	v_mul_f32_e32 v116, v48, v244                              // 000000006074: 0AE9E930
	v_mul_f32_e32 v117, v48, v245                              // 000000006078: 0AEBEB30
	v_mul_f32_e32 v118, v48, v246                              // 00000000607C: 0AEDED30
	v_mul_f32_e32 v119, v48, v247                              // 000000006080: 0AEFEF30
	v_mul_f32_e32 v120, v48, v248                              // 000000006084: 0AF1F130
	v_mul_f32_e32 v121, v48, v249                              // 000000006088: 0AF3F330
	v_mul_f32_e32 v122, v48, v250                              // 00000000608C: 0AF5F530
	v_mul_f32_e32 v123, v48, v251                              // 000000006090: 0AF7F730
	v_mul_f32_e32 v124, v48, v252                              // 000000006094: 0AF9F930
	v_mul_f32_e32 v125, v48, v253                              // 000000006098: 0AFBFB30
	v_mul_f32_e32 v126, v48, v254                              // 00000000609C: 0AFDFD30
	v_mul_f32_e32 v127, v48, v255                              // 0000000060A0: 0AFFFF30
	v_cvt_pk_fp8_f32 v112, v112, v113                          // 0000000060A4: D2A20070 0002E370
	v_cvt_pk_fp8_f32 v112, v114, v115 op_sel:[0,0,1]           // 0000000060AC: D2A24070 0002E772
	v_cvt_pk_fp8_f32 v113, v116, v117                          // 0000000060B4: D2A20071 0002EB74
	v_cvt_pk_fp8_f32 v113, v118, v119 op_sel:[0,0,1]           // 0000000060BC: D2A24071 0002EF76
	v_cvt_pk_fp8_f32 v114, v120, v121                          // 0000000060C4: D2A20072 0002F378
	v_cvt_pk_fp8_f32 v114, v122, v123 op_sel:[0,0,1]           // 0000000060CC: D2A24072 0002F77A
	v_cvt_pk_fp8_f32 v115, v124, v125                          // 0000000060D4: D2A20073 0002FB7C
	v_cvt_pk_fp8_f32 v115, v126, v127 op_sel:[0,0,1]           // 0000000060DC: D2A24073 0002FF7E
	ds_write_b32 v10, v112 offset:25088                        // 0000000060E4: D81A6200 0000700A
	ds_write_b32 v10, v113 offset:26112                        // 0000000060EC: D81A6600 0000710A
	ds_write_b32 v10, v114 offset:27136                        // 0000000060F4: D81A6A00 0000720A
	ds_write_b32 v10, v115 offset:28160                        // 0000000060FC: D81A6E00 0000730A
	v_add_f32_e32 v208, v208, v176                             // 000000006104: 03A161D0
	v_add_f32_e32 v209, v209, v177                             // 000000006108: 03A363D1
	v_add_f32_e32 v210, v210, v178                             // 00000000610C: 03A565D2
	v_add_f32_e32 v211, v211, v179                             // 000000006110: 03A767D3
	v_add_f32_e32 v212, v212, v180                             // 000000006114: 03A969D4
	v_add_f32_e32 v213, v213, v181                             // 000000006118: 03AB6BD5
	v_add_f32_e32 v214, v214, v182                             // 00000000611C: 03AD6DD6
	v_add_f32_e32 v215, v215, v183                             // 000000006120: 03AF6FD7
	v_rcp_f32_e32 v44, v48                                     // 000000006124: 7E584530
	s_waitcnt lgkmcnt(0)                                       // 000000006128: BF8CC07F
	s_barrier                                                  // 00000000612C: BF8A0000
	ds_read_b64 v[112:113], v9 offset:25088                    // 000000006130: D8EC6200 70000009
	ds_read_b64 v[114:115], v9 offset:25216                    // 000000006138: D8EC6280 72000009
	ds_read_b64 v[116:117], v9 offset:26112                    // 000000006140: D8EC6600 74000009
	ds_read_b64 v[118:119], v9 offset:26240                    // 000000006148: D8EC6680 76000009
	ds_read_b64 v[120:121], v9 offset:27136                    // 000000006150: D8EC6A00 78000009
	ds_read_b64 v[122:123], v9 offset:27264                    // 000000006158: D8EC6A80 7A000009
	ds_read_b64 v[124:125], v9 offset:28160                    // 000000006160: D8EC6E00 7C000009
	ds_read_b64 v[126:127], v9 offset:28288                    // 000000006168: D8EC6E80 7E000009
	s_waitcnt vmcnt(0)                                         // 000000006170: BF8C0F70
	s_barrier                                                  // 000000006174: BF8A0000
	s_waitcnt lgkmcnt(7)                                       // 000000006178: BF8CC77F
	v_mfma_f32_16x16x32_fp8_fp8 v[176:179], a[64:65], v[112:113], 0// 00000000617C: D3F300B0 0A02E140
	s_waitcnt lgkmcnt(6)                                       // 000000006184: BF8CC67F
	v_mfma_f32_16x16x32_fp8_fp8 v[176:179], a[66:67], v[114:115], v[176:179]// 000000006188: D3F300B0 0EC2E542
	s_waitcnt lgkmcnt(5)                                       // 000000006190: BF8CC57F
	v_mfma_f32_16x16x32_fp8_fp8 v[176:179], a[68:69], v[116:117], v[176:179]// 000000006194: D3F300B0 0EC2E944
	s_waitcnt lgkmcnt(4)                                       // 00000000619C: BF8CC47F
	v_mfma_f32_16x16x32_fp8_fp8 v[176:179], a[70:71], v[118:119], v[176:179]// 0000000061A0: D3F300B0 0EC2ED46
	s_waitcnt lgkmcnt(3)                                       // 0000000061A8: BF8CC37F
	v_mfma_f32_16x16x32_fp8_fp8 v[176:179], a[72:73], v[120:121], v[176:179]// 0000000061AC: D3F300B0 0EC2F148
	s_waitcnt lgkmcnt(2)                                       // 0000000061B4: BF8CC27F
	v_mfma_f32_16x16x32_fp8_fp8 v[176:179], a[74:75], v[122:123], v[176:179]// 0000000061B8: D3F300B0 0EC2F54A
	s_waitcnt lgkmcnt(1)                                       // 0000000061C0: BF8CC17F
	v_mfma_f32_16x16x32_fp8_fp8 v[176:179], a[76:77], v[124:125], v[176:179]// 0000000061C4: D3F300B0 0EC2F94C
	s_waitcnt lgkmcnt(0)                                       // 0000000061CC: BF8CC07F
	v_mfma_f32_16x16x32_fp8_fp8 v[176:179], a[78:79], v[126:127], v[176:179]// 0000000061D0: D3F300B0 0EC2FD4E
	v_mfma_f32_16x16x32_fp8_fp8 v[180:183], a[80:81], v[112:113], 0// 0000000061D8: D3F300B4 0A02E150
	v_mfma_f32_16x16x32_fp8_fp8 v[180:183], a[82:83], v[114:115], v[180:183]// 0000000061E0: D3F300B4 0ED2E552
	v_mfma_f32_16x16x32_fp8_fp8 v[180:183], a[84:85], v[116:117], v[180:183]// 0000000061E8: D3F300B4 0ED2E954
	v_mfma_f32_16x16x32_fp8_fp8 v[180:183], a[86:87], v[118:119], v[180:183]// 0000000061F0: D3F300B4 0ED2ED56
	v_mfma_f32_16x16x32_fp8_fp8 v[180:183], a[88:89], v[120:121], v[180:183]// 0000000061F8: D3F300B4 0ED2F158
	v_mfma_f32_16x16x32_fp8_fp8 v[180:183], a[90:91], v[122:123], v[180:183]// 000000006200: D3F300B4 0ED2F55A
	v_mfma_f32_16x16x32_fp8_fp8 v[180:183], a[92:93], v[124:125], v[180:183]// 000000006208: D3F300B4 0ED2F95C
	v_mfma_f32_16x16x32_fp8_fp8 v[180:183], a[94:95], v[126:127], v[180:183]// 000000006210: D3F300B4 0ED2FD5E
	s_nop 4                                                    // 000000006218: BF800004
	s_branch label_12FA                                        // 00000000621C: BF8202F2

0000000000006220 <label_1008>:
	s_waitcnt vmcnt(8) lgkmcnt(0)                              // 000000006220: BF8C0078
	s_barrier                                                  // 000000006224: BF8A0000
	v_mfma_f32_16x16x32_fp8_fp8 v[112:115], a[32:33], v[80:81], 0// 000000006228: D3F30070 0A02A120
	v_mfma_f32_16x16x32_fp8_fp8 v[112:115], a[34:35], v[82:83], v[112:115]// 000000006230: D3F30070 0DC2A522
	v_mfma_f32_16x16x32_fp8_fp8 v[112:115], a[36:37], v[84:85], v[112:115]// 000000006238: D3F30070 0DC2A924
	v_mfma_f32_16x16x32_fp8_fp8 v[112:115], a[38:39], v[86:87], v[112:115]// 000000006240: D3F30070 0DC2AD26
	v_mfma_f32_16x16x32_fp8_fp8 v[116:119], a[40:41], v[80:81], 0// 000000006248: D3F30074 0A02A128
	v_mfma_f32_16x16x32_fp8_fp8 v[116:119], a[42:43], v[82:83], v[116:119]// 000000006250: D3F30074 0DD2A52A
	v_mfma_f32_16x16x32_fp8_fp8 v[116:119], a[44:45], v[84:85], v[116:119]// 000000006258: D3F30074 0DD2A92C
	v_mfma_f32_16x16x32_fp8_fp8 v[116:119], a[46:47], v[86:87], v[116:119]// 000000006260: D3F30074 0DD2AD2E
	v_mfma_f32_16x16x32_fp8_fp8 v[120:123], a[48:49], v[80:81], 0// 000000006268: D3F30078 0A02A130
	v_mfma_f32_16x16x32_fp8_fp8 v[120:123], a[50:51], v[82:83], v[120:123]// 000000006270: D3F30078 0DE2A532
	v_mfma_f32_16x16x32_fp8_fp8 v[120:123], a[52:53], v[84:85], v[120:123]// 000000006278: D3F30078 0DE2A934
	v_mfma_f32_16x16x32_fp8_fp8 v[120:123], a[54:55], v[86:87], v[120:123]// 000000006280: D3F30078 0DE2AD36
	v_mfma_f32_16x16x32_fp8_fp8 v[124:127], a[56:57], v[80:81], 0// 000000006288: D3F3007C 0A02A138
	v_mfma_f32_16x16x32_fp8_fp8 v[124:127], a[58:59], v[82:83], v[124:127]// 000000006290: D3F3007C 0DF2A53A
	v_mfma_f32_16x16x32_fp8_fp8 v[124:127], a[60:61], v[84:85], v[124:127]// 000000006298: D3F3007C 0DF2A93C
	v_mfma_f32_16x16x32_fp8_fp8 v[124:127], a[62:63], v[86:87], v[124:127]// 0000000062A0: D3F3007C 0DF2AD3E
	v_mov_b32_dpp v64, v43 row_shr:4 row_mask:0xf bank_mask:0xf// 0000000062A8: 7E8002FA FF01142B
	v_mov_b32_dpp v65, v43 row_shl:4 row_mask:0xf bank_mask:0xf// 0000000062B0: 7E8202FA FF01042B
	v_cndmask_b32_e64 v248, v43, v64, s[44:45]                 // 0000000062B8: D10000F8 00B2812B
	v_cndmask_b32_e64 v249, v65, v43, s[44:45]                 // 0000000062C0: D10000F9 00B25741
	v_mov_b32_dpp v64, v248 row_shr:8 row_mask:0xf bank_mask:0xf// 0000000062C8: 7E8002FA FF0118F8
	v_mov_b32_dpp v65, v248 row_shl:8 row_mask:0xf bank_mask:0xf// 0000000062D0: 7E8202FA FF0108F8
	v_mov_b32_dpp v66, v249 row_shr:8 row_mask:0xf bank_mask:0xf// 0000000062D8: 7E8402FA FF0118F9
	v_mov_b32_dpp v67, v249 row_shl:8 row_mask:0xf bank_mask:0xf// 0000000062E0: 7E8602FA FF0108F9
	v_mov_b32_e32 v68, v248                                    // 0000000062E8: 7E8803F8
	v_mov_b32_e32 v69, v249                                    // 0000000062EC: 7E8A03F9
	v_cndmask_b32_e64 v248, v68, v64, s[42:43]                 // 0000000062F0: D10000F8 00AA8144
	v_cndmask_b32_e64 v250, v68, v65, s[78:79]                 // 0000000062F8: D10000FA 013A8344
	v_cndmask_b32_e64 v249, v69, v66, s[42:43]                 // 000000006300: D10000F9 00AA8545
	v_cndmask_b32_e64 v251, v69, v67, s[78:79]                 // 000000006308: D10000FB 013A8745
	v_mov_b32_dpp v64, v58 row_shr:4 row_mask:0xf bank_mask:0xf// 000000006310: 7E8002FA FF01143A
	v_mov_b32_dpp v65, v58 row_shl:4 row_mask:0xf bank_mask:0xf// 000000006318: 7E8202FA FF01043A
	v_cndmask_b32_e64 v252, v58, v64, s[44:45]                 // 000000006320: D10000FC 00B2813A
	v_cndmask_b32_e64 v253, v65, v58, s[44:45]                 // 000000006328: D10000FD 00B27541
	v_mov_b32_dpp v64, v252 row_shr:8 row_mask:0xf bank_mask:0xf// 000000006330: 7E8002FA FF0118FC
	v_mov_b32_dpp v65, v252 row_shl:8 row_mask:0xf bank_mask:0xf// 000000006338: 7E8202FA FF0108FC
	v_mov_b32_dpp v66, v253 row_shr:8 row_mask:0xf bank_mask:0xf// 000000006340: 7E8402FA FF0118FD
	v_mov_b32_dpp v67, v253 row_shl:8 row_mask:0xf bank_mask:0xf// 000000006348: 7E8602FA FF0108FD
	v_mov_b32_e32 v68, v252                                    // 000000006350: 7E8803FC
	v_mov_b32_e32 v69, v253                                    // 000000006354: 7E8A03FD
	v_cndmask_b32_e64 v252, v68, v64, s[42:43]                 // 000000006358: D10000FC 00AA8144
	v_cndmask_b32_e64 v254, v68, v65, s[78:79]                 // 000000006360: D10000FE 013A8344
	v_cndmask_b32_e64 v253, v69, v66, s[42:43]                 // 000000006368: D10000FD 00AA8545
	v_cndmask_b32_e64 v255, v69, v67, s[78:79]                 // 000000006370: D10000FF 013A8745
	v_mul_f32_e32 v112, v18, v112                              // 000000006378: 0AE0E112
	v_mul_f32_e32 v113, v18, v113                              // 00000000637C: 0AE2E312
	v_mul_f32_e32 v114, v18, v114                              // 000000006380: 0AE4E512
	v_mul_f32_e32 v115, v18, v115                              // 000000006384: 0AE6E712
	v_mul_f32_e32 v116, v18, v116                              // 000000006388: 0AE8E912
	v_mul_f32_e32 v117, v18, v117                              // 00000000638C: 0AEAEB12
	v_mul_f32_e32 v118, v18, v118                              // 000000006390: 0AECED12
	v_mul_f32_e32 v119, v18, v119                              // 000000006394: 0AEEEF12
	v_mul_f32_e32 v120, v18, v120                              // 000000006398: 0AF0F112
	v_mul_f32_e32 v121, v18, v121                              // 00000000639C: 0AF2F312
	v_mul_f32_e32 v122, v18, v122                              // 0000000063A0: 0AF4F512
	v_mul_f32_e32 v123, v18, v123                              // 0000000063A4: 0AF6F712
	v_mul_f32_e32 v124, v18, v124                              // 0000000063A8: 0AF8F912
	v_mul_f32_e32 v125, v18, v125                              // 0000000063AC: 0AFAFB12
	v_mul_f32_e32 v126, v18, v126                              // 0000000063B0: 0AFCFD12
	v_mul_f32_e32 v127, v18, v127                              // 0000000063B4: 0AFEFF12
	v_mul_f32_dpp v112, v248, v112 quad_perm:[0,0,0,0] row_mask:0xf bank_mask:0xf// 0000000063B8: 0AE0E0FA FF0000F8
	v_mul_f32_dpp v113, v248, v113 quad_perm:[1,1,1,1] row_mask:0xf bank_mask:0xf// 0000000063C0: 0AE2E2FA FF0055F8
	v_mul_f32_dpp v114, v248, v114 quad_perm:[2,2,2,2] row_mask:0xf bank_mask:0xf// 0000000063C8: 0AE4E4FA FF00AAF8
	v_mul_f32_dpp v115, v248, v115 quad_perm:[3,3,3,3] row_mask:0xf bank_mask:0xf// 0000000063D0: 0AE6E6FA FF00FFF8
	v_mul_f32_dpp v116, v249, v116 quad_perm:[0,0,0,0] row_mask:0xf bank_mask:0xf// 0000000063D8: 0AE8E8FA FF0000F9
	v_mul_f32_dpp v117, v249, v117 quad_perm:[1,1,1,1] row_mask:0xf bank_mask:0xf// 0000000063E0: 0AEAEAFA FF0055F9
	v_mul_f32_dpp v118, v249, v118 quad_perm:[2,2,2,2] row_mask:0xf bank_mask:0xf// 0000000063E8: 0AECECFA FF00AAF9
	v_mul_f32_dpp v119, v249, v119 quad_perm:[3,3,3,3] row_mask:0xf bank_mask:0xf// 0000000063F0: 0AEEEEFA FF00FFF9
	v_mul_f32_dpp v120, v250, v120 quad_perm:[0,0,0,0] row_mask:0xf bank_mask:0xf// 0000000063F8: 0AF0F0FA FF0000FA
	v_mul_f32_dpp v121, v250, v121 quad_perm:[1,1,1,1] row_mask:0xf bank_mask:0xf// 000000006400: 0AF2F2FA FF0055FA
	v_mul_f32_dpp v122, v250, v122 quad_perm:[2,2,2,2] row_mask:0xf bank_mask:0xf// 000000006408: 0AF4F4FA FF00AAFA
	v_mul_f32_dpp v123, v250, v123 quad_perm:[3,3,3,3] row_mask:0xf bank_mask:0xf// 000000006410: 0AF6F6FA FF00FFFA
	v_mul_f32_dpp v124, v251, v124 quad_perm:[0,0,0,0] row_mask:0xf bank_mask:0xf// 000000006418: 0AF8F8FA FF0000FB
	v_mul_f32_dpp v125, v251, v125 quad_perm:[1,1,1,1] row_mask:0xf bank_mask:0xf// 000000006420: 0AFAFAFA FF0055FB
	v_mul_f32_dpp v126, v251, v126 quad_perm:[2,2,2,2] row_mask:0xf bank_mask:0xf// 000000006428: 0AFCFCFA FF00AAFB
	v_mul_f32_dpp v127, v251, v127 quad_perm:[3,3,3,3] row_mask:0xf bank_mask:0xf// 000000006430: 0AFEFEFA FF00FFFB
	s_cmp_le_i32 s90, s89                                      // 000000006438: BF05595A
	s_cbranch_scc1 label_1101                                  // 00000000643C: BF850071
	v_mov_b32_e32 v66, 0xff800000                              // 000000006440: 7E8402FF FF800000
	s_mov_b32 s60, s90                                         // 000000006448: BEBC005A
	s_add_u32 s61, s89, 0xff                                   // 00000000644C: 803DFF59 000000FF
	v_mov_b32_e32 v64, s61                                     // 000000006454: 7E80023D
	v_lshrrev_b32_e32 v240, 4, v0                              // 000000006458: 21E00084
	v_mul_i32_i24_e32 v240, 4, v240                            // 00000000645C: 0DE1E084
	v_add_u32_e32 v240, s60, v240                              // 000000006460: 69E1E03C
	s_mov_b32 s61, 0                                           // 000000006464: BEBD0080
	s_mul_i32 s60, 16, s7                                      // 000000006468: 923C0790
	v_sub_u32_e64 v240, v240, s61                              // 00000000646C: D13500F0 00007BF0
	v_add_u32_e32 v240, s60, v240                              // 000000006474: 69E1E03C
	v_add_u32_e32 v241, 1, v240                                // 000000006478: 69E3E081
	v_add_u32_e32 v242, 2, v240                                // 00000000647C: 69E5E082
	v_add_u32_e32 v243, 3, v240                                // 000000006480: 69E7E083
	v_cmp_le_u32_e64 s[40:41], v240, v64                       // 000000006484: D0CB0028 000281F0
	v_add_u32_e32 v240, 64, v240                               // 00000000648C: 69E1E0C0
	s_nop 0                                                    // 000000006490: BF800000
	v_cndmask_b32_e64 v112, v66, v112, s[40:41]                // 000000006494: D1000070 00A2E142
	v_cmp_le_u32_e64 s[40:41], v241, v64                       // 00000000649C: D0CB0028 000281F1
	v_add_u32_e32 v241, 64, v241                               // 0000000064A4: 69E3E2C0
	s_nop 0                                                    // 0000000064A8: BF800000
	v_cndmask_b32_e64 v113, v66, v113, s[40:41]                // 0000000064AC: D1000071 00A2E342
	v_cmp_le_u32_e64 s[40:41], v242, v64                       // 0000000064B4: D0CB0028 000281F2
	v_add_u32_e32 v242, 64, v242                               // 0000000064BC: 69E5E4C0
	s_nop 0                                                    // 0000000064C0: BF800000
	v_cndmask_b32_e64 v114, v66, v114, s[40:41]                // 0000000064C4: D1000072 00A2E542
	v_cmp_le_u32_e64 s[40:41], v243, v64                       // 0000000064CC: D0CB0028 000281F3
	v_add_u32_e32 v243, 64, v243                               // 0000000064D4: 69E7E6C0
	s_nop 0                                                    // 0000000064D8: BF800000
	v_cndmask_b32_e64 v115, v66, v115, s[40:41]                // 0000000064DC: D1000073 00A2E742
	v_cmp_le_u32_e64 s[40:41], v240, v64                       // 0000000064E4: D0CB0028 000281F0
	v_add_u32_e32 v240, 64, v240                               // 0000000064EC: 69E1E0C0
	s_nop 0                                                    // 0000000064F0: BF800000
	v_cndmask_b32_e64 v116, v66, v116, s[40:41]                // 0000000064F4: D1000074 00A2E942
	v_cmp_le_u32_e64 s[40:41], v241, v64                       // 0000000064FC: D0CB0028 000281F1
	v_add_u32_e32 v241, 64, v241                               // 000000006504: 69E3E2C0
	s_nop 0                                                    // 000000006508: BF800000
	v_cndmask_b32_e64 v117, v66, v117, s[40:41]                // 00000000650C: D1000075 00A2EB42
	v_cmp_le_u32_e64 s[40:41], v242, v64                       // 000000006514: D0CB0028 000281F2
	v_add_u32_e32 v242, 64, v242                               // 00000000651C: 69E5E4C0
	s_nop 0                                                    // 000000006520: BF800000
	v_cndmask_b32_e64 v118, v66, v118, s[40:41]                // 000000006524: D1000076 00A2ED42
	v_cmp_le_u32_e64 s[40:41], v243, v64                       // 00000000652C: D0CB0028 000281F3
	v_add_u32_e32 v243, 64, v243                               // 000000006534: 69E7E6C0
	s_nop 0                                                    // 000000006538: BF800000
	v_cndmask_b32_e64 v119, v66, v119, s[40:41]                // 00000000653C: D1000077 00A2EF42
	v_cmp_le_u32_e64 s[40:41], v240, v64                       // 000000006544: D0CB0028 000281F0
	v_add_u32_e32 v240, 64, v240                               // 00000000654C: 69E1E0C0
	s_nop 0                                                    // 000000006550: BF800000
	v_cndmask_b32_e64 v120, v66, v120, s[40:41]                // 000000006554: D1000078 00A2F142
	v_cmp_le_u32_e64 s[40:41], v241, v64                       // 00000000655C: D0CB0028 000281F1
	v_add_u32_e32 v241, 64, v241                               // 000000006564: 69E3E2C0
	s_nop 0                                                    // 000000006568: BF800000
	v_cndmask_b32_e64 v121, v66, v121, s[40:41]                // 00000000656C: D1000079 00A2F342
	v_cmp_le_u32_e64 s[40:41], v242, v64                       // 000000006574: D0CB0028 000281F2
	v_add_u32_e32 v242, 64, v242                               // 00000000657C: 69E5E4C0
	s_nop 0                                                    // 000000006580: BF800000
	v_cndmask_b32_e64 v122, v66, v122, s[40:41]                // 000000006584: D100007A 00A2F542
	v_cmp_le_u32_e64 s[40:41], v243, v64                       // 00000000658C: D0CB0028 000281F3
	v_add_u32_e32 v243, 64, v243                               // 000000006594: 69E7E6C0
	s_nop 0                                                    // 000000006598: BF800000
	v_cndmask_b32_e64 v123, v66, v123, s[40:41]                // 00000000659C: D100007B 00A2F742
	v_cmp_le_u32_e64 s[40:41], v240, v64                       // 0000000065A4: D0CB0028 000281F0
	v_add_u32_e32 v240, 64, v240                               // 0000000065AC: 69E1E0C0
	s_nop 0                                                    // 0000000065B0: BF800000
	v_cndmask_b32_e64 v124, v66, v124, s[40:41]                // 0000000065B4: D100007C 00A2F942
	v_cmp_le_u32_e64 s[40:41], v241, v64                       // 0000000065BC: D0CB0028 000281F1
	v_add_u32_e32 v241, 64, v241                               // 0000000065C4: 69E3E2C0
	s_nop 0                                                    // 0000000065C8: BF800000
	v_cndmask_b32_e64 v125, v66, v125, s[40:41]                // 0000000065CC: D100007D 00A2FB42
	v_cmp_le_u32_e64 s[40:41], v242, v64                       // 0000000065D4: D0CB0028 000281F2
	v_add_u32_e32 v242, 64, v242                               // 0000000065DC: 69E5E4C0
	s_nop 0                                                    // 0000000065E0: BF800000
	v_cndmask_b32_e64 v126, v66, v126, s[40:41]                // 0000000065E4: D100007E 00A2FD42
	v_cmp_le_u32_e64 s[40:41], v243, v64                       // 0000000065EC: D0CB0028 000281F3
	v_add_u32_e32 v243, 64, v243                               // 0000000065F4: 69E7E6C0
	s_nop 0                                                    // 0000000065F8: BF800000
	v_cndmask_b32_e64 v127, v66, v127, s[40:41]                // 0000000065FC: D100007F 00A2FF42

0000000000006604 <label_1101>:
	s_add_u32 s90, s91, s90                                    // 000000006604: 805A5A5B
	s_and_b32 s60, s72, 0xff                                   // 000000006608: 863CFF48 000000FF
	v_mov_b32_e32 v65, s60                                     // 000000006610: 7E82023C
	v_lshrrev_b32_e32 v240, 4, v0                              // 000000006614: 21E00084
	v_mul_i32_i24_e32 v240, 4, v240                            // 000000006618: 0DE1E084
	s_mul_i32 s60, s7, 16                                      // 00000000661C: 923C9007
	v_add_u32_e32 v240, s60, v240                              // 000000006620: 69E1E03C
	v_add_u32_e32 v241, 1, v240                                // 000000006624: 69E3E081
	v_add_u32_e32 v242, 2, v240                                // 000000006628: 69E5E082
	v_add_u32_e32 v243, 3, v240                                // 00000000662C: 69E7E083
	v_mov_b32_e32 v64, 0xff800000                              // 000000006630: 7E8002FF FF800000
	v_cmp_lt_u32_e64 s[40:41], v240, v65                       // 000000006638: D0C90028 000283F0
	v_add_u32_e32 v240, 64, v240                               // 000000006640: 69E1E0C0
	s_nop 0                                                    // 000000006644: BF800000
	v_cndmask_b32_e64 v112, v64, v112, s[40:41]                // 000000006648: D1000070 00A2E140
	v_cmp_lt_u32_e64 s[40:41], v241, v65                       // 000000006650: D0C90028 000283F1
	v_add_u32_e32 v241, 64, v241                               // 000000006658: 69E3E2C0
	s_nop 0                                                    // 00000000665C: BF800000
	v_cndmask_b32_e64 v113, v64, v113, s[40:41]                // 000000006660: D1000071 00A2E340
	v_cmp_lt_u32_e64 s[40:41], v242, v65                       // 000000006668: D0C90028 000283F2
	v_add_u32_e32 v242, 64, v242                               // 000000006670: 69E5E4C0
	s_nop 0                                                    // 000000006674: BF800000
	v_cndmask_b32_e64 v114, v64, v114, s[40:41]                // 000000006678: D1000072 00A2E540
	v_cmp_lt_u32_e64 s[40:41], v243, v65                       // 000000006680: D0C90028 000283F3
	v_add_u32_e32 v243, 64, v243                               // 000000006688: 69E7E6C0
	s_nop 0                                                    // 00000000668C: BF800000
	v_cndmask_b32_e64 v115, v64, v115, s[40:41]                // 000000006690: D1000073 00A2E740
	v_cmp_lt_u32_e64 s[40:41], v240, v65                       // 000000006698: D0C90028 000283F0
	v_add_u32_e32 v240, 64, v240                               // 0000000066A0: 69E1E0C0
	s_nop 0                                                    // 0000000066A4: BF800000
	v_cndmask_b32_e64 v116, v64, v116, s[40:41]                // 0000000066A8: D1000074 00A2E940
	v_cmp_lt_u32_e64 s[40:41], v241, v65                       // 0000000066B0: D0C90028 000283F1
	v_add_u32_e32 v241, 64, v241                               // 0000000066B8: 69E3E2C0
	s_nop 0                                                    // 0000000066BC: BF800000
	v_cndmask_b32_e64 v117, v64, v117, s[40:41]                // 0000000066C0: D1000075 00A2EB40
	v_cmp_lt_u32_e64 s[40:41], v242, v65                       // 0000000066C8: D0C90028 000283F2
	v_add_u32_e32 v242, 64, v242                               // 0000000066D0: 69E5E4C0
	s_nop 0                                                    // 0000000066D4: BF800000
	v_cndmask_b32_e64 v118, v64, v118, s[40:41]                // 0000000066D8: D1000076 00A2ED40
	v_cmp_lt_u32_e64 s[40:41], v243, v65                       // 0000000066E0: D0C90028 000283F3
	v_add_u32_e32 v243, 64, v243                               // 0000000066E8: 69E7E6C0
	s_nop 0                                                    // 0000000066EC: BF800000
	v_cndmask_b32_e64 v119, v64, v119, s[40:41]                // 0000000066F0: D1000077 00A2EF40
	v_cmp_lt_u32_e64 s[40:41], v240, v65                       // 0000000066F8: D0C90028 000283F0
	v_add_u32_e32 v240, 64, v240                               // 000000006700: 69E1E0C0
	s_nop 0                                                    // 000000006704: BF800000
	v_cndmask_b32_e64 v120, v64, v120, s[40:41]                // 000000006708: D1000078 00A2F140
	v_cmp_lt_u32_e64 s[40:41], v241, v65                       // 000000006710: D0C90028 000283F1
	v_add_u32_e32 v241, 64, v241                               // 000000006718: 69E3E2C0
	s_nop 0                                                    // 00000000671C: BF800000
	v_cndmask_b32_e64 v121, v64, v121, s[40:41]                // 000000006720: D1000079 00A2F340
	v_cmp_lt_u32_e64 s[40:41], v242, v65                       // 000000006728: D0C90028 000283F2
	v_add_u32_e32 v242, 64, v242                               // 000000006730: 69E5E4C0
	s_nop 0                                                    // 000000006734: BF800000
	v_cndmask_b32_e64 v122, v64, v122, s[40:41]                // 000000006738: D100007A 00A2F540
	v_cmp_lt_u32_e64 s[40:41], v243, v65                       // 000000006740: D0C90028 000283F3
	v_add_u32_e32 v243, 64, v243                               // 000000006748: 69E7E6C0
	s_nop 0                                                    // 00000000674C: BF800000
	v_cndmask_b32_e64 v123, v64, v123, s[40:41]                // 000000006750: D100007B 00A2F740
	v_cmp_lt_u32_e64 s[40:41], v240, v65                       // 000000006758: D0C90028 000283F0
	v_add_u32_e32 v240, 64, v240                               // 000000006760: 69E1E0C0
	s_nop 0                                                    // 000000006764: BF800000
	v_cndmask_b32_e64 v124, v64, v124, s[40:41]                // 000000006768: D100007C 00A2F940
	v_cmp_lt_u32_e64 s[40:41], v241, v65                       // 000000006770: D0C90028 000283F1
	v_add_u32_e32 v241, 64, v241                               // 000000006778: 69E3E2C0
	s_nop 0                                                    // 00000000677C: BF800000
	v_cndmask_b32_e64 v125, v64, v125, s[40:41]                // 000000006780: D100007D 00A2FB40
	v_cmp_lt_u32_e64 s[40:41], v242, v65                       // 000000006788: D0C90028 000283F2
	v_add_u32_e32 v242, 64, v242                               // 000000006790: 69E5E4C0
	s_nop 0                                                    // 000000006794: BF800000
	v_cndmask_b32_e64 v126, v64, v126, s[40:41]                // 000000006798: D100007E 00A2FD40
	v_cmp_lt_u32_e64 s[40:41], v243, v65                       // 0000000067A0: D0C90028 000283F3
	v_add_u32_e32 v243, 64, v243                               // 0000000067A8: 69E7E6C0
	s_nop 0                                                    // 0000000067AC: BF800000
	v_cndmask_b32_e64 v127, v64, v127, s[40:41]                // 0000000067B0: D100007F 00A2FF40
	v_mov_b32_e32 v48, v112                                    // 0000000067B8: 7E600370
	v_max3_f32 v48, v112, v113, v48                            // 0000000067BC: D1D30030 04C2E370
	v_max3_f32 v48, v114, v115, v48                            // 0000000067C4: D1D30030 04C2E772
	v_max3_f32 v48, v116, v117, v48                            // 0000000067CC: D1D30030 04C2EB74
	v_max3_f32 v48, v118, v119, v48                            // 0000000067D4: D1D30030 04C2EF76
	v_max3_f32 v48, v120, v121, v48                            // 0000000067DC: D1D30030 04C2F378
	v_max3_f32 v48, v122, v123, v48                            // 0000000067E4: D1D30030 04C2F77A
	v_max3_f32 v48, v124, v125, v48                            // 0000000067EC: D1D30030 04C2FB7C
	v_max3_f32 v48, v126, v127, v48                            // 0000000067F4: D1D30030 04C2FF7E
	ds_write_b32 v8, v48 offset:16896                          // 0000000067FC: D81A4200 00003008
	v_mul_u32_u24_dpp v64, v16, v54 row_newbcast:1 row_mask:0xf bank_mask:0xf// 000000006804: 10806CFA FF015110
	v_mul_u32_u24_dpp v65, v16, v54 row_newbcast:5 row_mask:0xf bank_mask:0xf// 00000000680C: 10826CFA FF015510
	v_mul_u32_u24_dpp v66, v16, v54 row_newbcast:9 row_mask:0xf bank_mask:0xf// 000000006814: 10846CFA FF015910
	v_mul_u32_u24_dpp v67, v16, v54 row_newbcast:13 row_mask:0xf bank_mask:0xf// 00000000681C: 10866CFA FF015D10
	v_add_u32_e32 v30, v64, v6                                 // 000000006824: 683C0D40
	v_add_u32_e32 v31, v65, v6                                 // 000000006828: 683E0D41
	v_add_u32_e32 v32, v66, v6                                 // 00000000682C: 68400D42
	v_add_u32_e32 v33, v67, v6                                 // 000000006830: 68420D43
	v_mul_f32_e32 v208, v49, v208                              // 000000006834: 0BA1A131
	v_mul_f32_e32 v209, v49, v209                              // 000000006838: 0BA3A331
	v_mul_f32_e32 v210, v49, v210                              // 00000000683C: 0BA5A531
	v_mul_f32_e32 v211, v49, v211                              // 000000006840: 0BA7A731
	v_mul_f32_e32 v212, v49, v212                              // 000000006844: 0BA9A931
	v_mul_f32_e32 v213, v49, v213                              // 000000006848: 0BABAB31
	v_mul_f32_e32 v214, v49, v214                              // 00000000684C: 0BADAD31
	v_mul_f32_e32 v215, v49, v215                              // 000000006850: 0BAFAF31
	s_waitcnt lgkmcnt(0)                                       // 000000006854: BF8CC07F
	s_barrier                                                  // 000000006858: BF8A0000
	ds_read_b32 v64, v7 offset:16896                           // 00000000685C: D86C4200 40000007
	ds_read_b32 v65, v7 offset:16960                           // 000000006864: D86C4240 41000007
	ds_read_b32 v66, v7 offset:17024                           // 00000000686C: D86C4280 42000007
	ds_read_b32 v67, v7 offset:17088                           // 000000006874: D86C42C0 43000007
	ds_read_b32 v68, v7 offset:17152                           // 00000000687C: D86C4300 44000007
	ds_read_b32 v69, v7 offset:17216                           // 000000006884: D86C4340 45000007
	ds_read_b32 v70, v7 offset:17280                           // 00000000688C: D86C4380 46000007
	ds_read_b32 v71, v7 offset:17344                           // 000000006894: D86C43C0 47000007
	ds_read_b32 v72, v7 offset:17408                           // 00000000689C: D86C4400 48000007
	ds_read_b32 v73, v7 offset:17472                           // 0000000068A4: D86C4440 49000007
	ds_read_b32 v74, v7 offset:17536                           // 0000000068AC: D86C4480 4A000007
	ds_read_b32 v75, v7 offset:17600                           // 0000000068B4: D86C44C0 4B000007
	ds_read_b32 v76, v7 offset:17664                           // 0000000068BC: D86C4500 4C000007
	ds_read_b32 v77, v7 offset:17728                           // 0000000068C4: D86C4540 4D000007
	ds_read_b32 v78, v7 offset:17792                           // 0000000068CC: D86C4580 4E000007
	ds_read_b32 v79, v7 offset:17856                           // 0000000068D4: D86C45C0 4F000007
	v_mul_f32_e32 v176, v44, v176                              // 0000000068DC: 0B61612C
	v_mul_f32_e32 v177, v44, v177                              // 0000000068E0: 0B63632C
	v_mul_f32_e32 v178, v44, v178                              // 0000000068E4: 0B65652C
	v_mul_f32_e32 v179, v44, v179                              // 0000000068E8: 0B67672C
	v_mul_f32_e32 v180, v44, v180                              // 0000000068EC: 0B69692C
	v_mul_f32_e32 v181, v44, v181                              // 0000000068F0: 0B6B6B2C
	v_mul_f32_e32 v182, v44, v182                              // 0000000068F4: 0B6D6D2C
	v_mul_f32_e32 v183, v44, v183                              // 0000000068F8: 0B6F6F2C
	s_waitcnt lgkmcnt(0)                                       // 0000000068FC: BF8CC07F
	v_max3_f32 v48, v64, v65, v48                              // 000000006900: D1D30030 04C28340
	v_max3_f32 v48, v66, v67, v48                              // 000000006908: D1D30030 04C28742
	v_max3_f32 v48, v68, v69, v48                              // 000000006910: D1D30030 04C28B44
	v_max3_f32 v48, v70, v71, v48                              // 000000006918: D1D30030 04C28F46
	v_max3_f32 v48, v72, v73, v48                              // 000000006920: D1D30030 04C29348
	v_max3_f32 v48, v74, v75, v48                              // 000000006928: D1D30030 04C2974A
	v_max3_f32 v48, v76, v77, v48                              // 000000006930: D1D30030 04C29B4C
	v_max3_f32 v48, v78, v79, v48                              // 000000006938: D1D30030 04C29F4E
	v_mov_b32_e32 v64, 0xff800000                              // 000000006940: 7E8002FF FF800000
	v_cmp_eq_u32_e64 s[40:41], v64, v11                        // 000000006948: D0CA0028 00021740
	s_nop 1                                                    // 000000006950: BF800001
	v_max_f32_e32 v15, v48, v11                                // 000000006954: 161E1730
	v_mul_f32_e32 v53, s64, v15                                // 000000006958: 0A6A1E40
	v_fma_f32 v112, v112, s64, -v53                            // 00000000695C: D1CB0070 84D48170
	v_fma_f32 v113, v113, s64, -v53                            // 000000006964: D1CB0071 84D48171
	v_fma_f32 v114, v114, s64, -v53                            // 00000000696C: D1CB0072 84D48172
	v_fma_f32 v115, v115, s64, -v53                            // 000000006974: D1CB0073 84D48173
	v_fma_f32 v116, v116, s64, -v53                            // 00000000697C: D1CB0074 84D48174
	v_fma_f32 v117, v117, s64, -v53                            // 000000006984: D1CB0075 84D48175
	v_fma_f32 v118, v118, s64, -v53                            // 00000000698C: D1CB0076 84D48176
	v_fma_f32 v119, v119, s64, -v53                            // 000000006994: D1CB0077 84D48177
	v_fma_f32 v120, v120, s64, -v53                            // 00000000699C: D1CB0078 84D48178
	v_fma_f32 v121, v121, s64, -v53                            // 0000000069A4: D1CB0079 84D48179
	v_fma_f32 v122, v122, s64, -v53                            // 0000000069AC: D1CB007A 84D4817A
	v_fma_f32 v123, v123, s64, -v53                            // 0000000069B4: D1CB007B 84D4817B
	v_fma_f32 v124, v124, s64, -v53                            // 0000000069BC: D1CB007C 84D4817C
	v_fma_f32 v125, v125, s64, -v53                            // 0000000069C4: D1CB007D 84D4817D
	v_fma_f32 v126, v126, s64, -v53                            // 0000000069CC: D1CB007E 84D4817E
	v_fma_f32 v127, v127, s64, -v53                            // 0000000069D4: D1CB007F 84D4817F
	v_exp_f32_e32 v112, v112                                   // 0000000069DC: 7EE04170
	v_exp_f32_e32 v113, v113                                   // 0000000069E0: 7EE24171
	v_exp_f32_e32 v114, v114                                   // 0000000069E4: 7EE44172
	v_exp_f32_e32 v115, v115                                   // 0000000069E8: 7EE64173
	v_exp_f32_e32 v116, v116                                   // 0000000069EC: 7EE84174
	v_exp_f32_e32 v117, v117                                   // 0000000069F0: 7EEA4175
	v_exp_f32_e32 v118, v118                                   // 0000000069F4: 7EEC4176
	v_exp_f32_e32 v119, v119                                   // 0000000069F8: 7EEE4177
	v_exp_f32_e32 v120, v120                                   // 0000000069FC: 7EF04178
	v_exp_f32_e32 v121, v121                                   // 000000006A00: 7EF24179
	v_exp_f32_e32 v122, v122                                   // 000000006A04: 7EF4417A
	v_exp_f32_e32 v123, v123                                   // 000000006A08: 7EF6417B
	v_exp_f32_e32 v124, v124                                   // 000000006A0C: 7EF8417C
	v_exp_f32_e32 v125, v125                                   // 000000006A10: 7EFA417D
	v_exp_f32_e32 v126, v126                                   // 000000006A14: 7EFC417E
	v_exp_f32_e32 v127, v127                                   // 000000006A18: 7EFE417F
	v_mul_f32_dpp v240, v252, v112 quad_perm:[0,0,0,0] row_mask:0xf bank_mask:0xf// 000000006A1C: 0BE0E0FA FF0000FC
	v_mul_f32_dpp v241, v252, v113 quad_perm:[1,1,1,1] row_mask:0xf bank_mask:0xf// 000000006A24: 0BE2E2FA FF0055FC
	v_mul_f32_dpp v242, v252, v114 quad_perm:[2,2,2,2] row_mask:0xf bank_mask:0xf// 000000006A2C: 0BE4E4FA FF00AAFC
	v_mul_f32_dpp v243, v252, v115 quad_perm:[3,3,3,3] row_mask:0xf bank_mask:0xf// 000000006A34: 0BE6E6FA FF00FFFC
	v_mul_f32_dpp v244, v253, v116 quad_perm:[0,0,0,0] row_mask:0xf bank_mask:0xf// 000000006A3C: 0BE8E8FA FF0000FD
	v_mul_f32_dpp v245, v253, v117 quad_perm:[1,1,1,1] row_mask:0xf bank_mask:0xf// 000000006A44: 0BEAEAFA FF0055FD
	v_mul_f32_dpp v246, v253, v118 quad_perm:[2,2,2,2] row_mask:0xf bank_mask:0xf// 000000006A4C: 0BECECFA FF00AAFD
	v_mul_f32_dpp v247, v253, v119 quad_perm:[3,3,3,3] row_mask:0xf bank_mask:0xf// 000000006A54: 0BEEEEFA FF00FFFD
	v_mul_f32_dpp v248, v254, v120 quad_perm:[0,0,0,0] row_mask:0xf bank_mask:0xf// 000000006A5C: 0BF0F0FA FF0000FE
	v_mul_f32_dpp v249, v254, v121 quad_perm:[1,1,1,1] row_mask:0xf bank_mask:0xf// 000000006A64: 0BF2F2FA FF0055FE
	v_mul_f32_dpp v250, v254, v122 quad_perm:[2,2,2,2] row_mask:0xf bank_mask:0xf// 000000006A6C: 0BF4F4FA FF00AAFE
	v_mul_f32_dpp v251, v254, v123 quad_perm:[3,3,3,3] row_mask:0xf bank_mask:0xf// 000000006A74: 0BF6F6FA FF00FFFE
	v_mul_f32_dpp v252, v255, v124 quad_perm:[0,0,0,0] row_mask:0xf bank_mask:0xf// 000000006A7C: 0BF8F8FA FF0000FF
	v_mul_f32_dpp v253, v255, v125 quad_perm:[1,1,1,1] row_mask:0xf bank_mask:0xf// 000000006A84: 0BFAFAFA FF0055FF
	v_mul_f32_dpp v254, v255, v126 quad_perm:[2,2,2,2] row_mask:0xf bank_mask:0xf// 000000006A8C: 0BFCFCFA FF00AAFF
	v_mul_f32_dpp v255, v255, v127 quad_perm:[3,3,3,3] row_mask:0xf bank_mask:0xf// 000000006A94: 0BFEFEFA FF00FFFF
	v_mov_b32_e32 v48, 0x358637bd                              // 000000006A9C: 7E6002FF 358637BD
	v_max3_f32 v48, |v240|, |v241|, v48                        // 000000006AA4: D1D30330 04C3E3F0
	v_max3_f32 v48, |v242|, |v243|, v48                        // 000000006AAC: D1D30330 04C3E7F2
	v_max3_f32 v48, |v244|, |v245|, v48                        // 000000006AB4: D1D30330 04C3EBF4
	v_max3_f32 v48, |v246|, |v247|, v48                        // 000000006ABC: D1D30330 04C3EFF6
	v_max3_f32 v48, |v248|, |v249|, v48                        // 000000006AC4: D1D30330 04C3F3F8
	v_max3_f32 v48, |v250|, |v251|, v48                        // 000000006ACC: D1D30330 04C3F7FA
	v_max3_f32 v48, |v252|, |v253|, v48                        // 000000006AD4: D1D30330 04C3FBFC
	v_max3_f32 v48, |v254|, |v255|, v48                        // 000000006ADC: D1D30330 04C3FFFE
	ds_write_b32 v8, v48 offset:20992                          // 000000006AE4: D81A5200 00003008
	v_sub_f32_e32 v49, v11, v15                                // 000000006AEC: 04621F0B
	v_cndmask_b32_e64 v49, v49, 0, s[40:41]                    // 000000006AF0: D1000031 00A10131
	v_mov_b32_e32 v11, v15                                     // 000000006AF8: 7E16030F
	v_mul_f32_e32 v49, s64, v49                                // 000000006AFC: 0A626240
	v_exp_f32_e32 v49, v49                                     // 000000006B00: 7E624131
	s_waitcnt lgkmcnt(0)                                       // 000000006B04: BF8CC07F
	s_barrier                                                  // 000000006B08: BF8A0000
	ds_read_b32 v64, v7 offset:20992                           // 000000006B0C: D86C5200 40000007
	ds_read_b32 v65, v7 offset:21056                           // 000000006B14: D86C5240 41000007
	ds_read_b32 v66, v7 offset:21120                           // 000000006B1C: D86C5280 42000007
	ds_read_b32 v67, v7 offset:21184                           // 000000006B24: D86C52C0 43000007
	ds_read_b32 v68, v7 offset:21248                           // 000000006B2C: D86C5300 44000007
	ds_read_b32 v69, v7 offset:21312                           // 000000006B34: D86C5340 45000007
	ds_read_b32 v70, v7 offset:21376                           // 000000006B3C: D86C5380 46000007
	ds_read_b32 v71, v7 offset:21440                           // 000000006B44: D86C53C0 47000007
	ds_read_b32 v72, v7 offset:21504                           // 000000006B4C: D86C5400 48000007
	ds_read_b32 v73, v7 offset:21568                           // 000000006B54: D86C5440 49000007
	ds_read_b32 v74, v7 offset:21632                           // 000000006B5C: D86C5480 4A000007
	ds_read_b32 v75, v7 offset:21696                           // 000000006B64: D86C54C0 4B000007
	ds_read_b32 v76, v7 offset:21760                           // 000000006B6C: D86C5500 4C000007
	ds_read_b32 v77, v7 offset:21824                           // 000000006B74: D86C5540 4D000007
	ds_read_b32 v78, v7 offset:21888                           // 000000006B7C: D86C5580 4E000007
	ds_read_b32 v79, v7 offset:21952                           // 000000006B84: D86C55C0 4F000007
	v_mul_f32_e32 v38, v49, v38                                // 000000006B8C: 0A4C4D31
	v_mov_b32_e32 v15, v112                                    // 000000006B90: 7E1E0370
	v_add_f32_e32 v15, v113, v15                               // 000000006B94: 021E1F71
	v_add_f32_e32 v15, v114, v15                               // 000000006B98: 021E1F72
	v_add_f32_e32 v15, v115, v15                               // 000000006B9C: 021E1F73
	v_add_f32_e32 v15, v116, v15                               // 000000006BA0: 021E1F74
	v_add_f32_e32 v15, v117, v15                               // 000000006BA4: 021E1F75
	v_add_f32_e32 v15, v118, v15                               // 000000006BA8: 021E1F76
	v_add_f32_e32 v15, v119, v15                               // 000000006BAC: 021E1F77
	v_add_f32_e32 v15, v120, v15                               // 000000006BB0: 021E1F78
	v_add_f32_e32 v15, v121, v15                               // 000000006BB4: 021E1F79
	v_add_f32_e32 v15, v122, v15                               // 000000006BB8: 021E1F7A
	v_add_f32_e32 v15, v123, v15                               // 000000006BBC: 021E1F7B
	v_add_f32_e32 v15, v124, v15                               // 000000006BC0: 021E1F7C
	v_add_f32_e32 v15, v125, v15                               // 000000006BC4: 021E1F7D
	v_add_f32_e32 v15, v126, v15                               // 000000006BC8: 021E1F7E
	v_add_f32_e32 v15, v127, v15                               // 000000006BCC: 021E1F7F
	v_add_f32_e32 v38, v15, v38                                // 000000006BD0: 024C4D0F
	s_waitcnt lgkmcnt(0)                                       // 000000006BD4: BF8CC07F
	v_max3_f32 v48, |v64|, |v65|, v48                          // 000000006BD8: D1D30330 04C28340
	v_max3_f32 v48, |v66|, |v67|, v48                          // 000000006BE0: D1D30330 04C28742
	v_max3_f32 v48, |v68|, |v69|, v48                          // 000000006BE8: D1D30330 04C28B44
	v_max3_f32 v48, |v70|, |v71|, v48                          // 000000006BF0: D1D30330 04C28F46
	v_max3_f32 v48, |v72|, |v73|, v48                          // 000000006BF8: D1D30330 04C29348
	v_max3_f32 v48, |v74|, |v75|, v48                          // 000000006C00: D1D30330 04C2974A
	v_max3_f32 v48, |v76|, |v77|, v48                          // 000000006C08: D1D30330 04C29B4C
	v_max3_f32 v48, |v78|, |v79|, v48                          // 000000006C10: D1D30330 04C29F4E
	s_nop 2                                                    // 000000006C18: BF800002
	v_rcp_f32_e32 v48, v48                                     // 000000006C1C: 7E604530
	s_nop 1                                                    // 000000006C20: BF800001
	v_mul_f32_e32 v48, 0x43e00000, v48                         // 000000006C24: 0A6060FF 43E00000
	v_mul_f32_e32 v112, v48, v240                              // 000000006C2C: 0AE1E130
	v_mul_f32_e32 v113, v48, v241                              // 000000006C30: 0AE3E330
	v_mul_f32_e32 v114, v48, v242                              // 000000006C34: 0AE5E530
	v_mul_f32_e32 v115, v48, v243                              // 000000006C38: 0AE7E730
	v_mul_f32_e32 v116, v48, v244                              // 000000006C3C: 0AE9E930
	v_mul_f32_e32 v117, v48, v245                              // 000000006C40: 0AEBEB30
	v_mul_f32_e32 v118, v48, v246                              // 000000006C44: 0AEDED30
	v_mul_f32_e32 v119, v48, v247                              // 000000006C48: 0AEFEF30
	v_mul_f32_e32 v120, v48, v248                              // 000000006C4C: 0AF1F130
	v_mul_f32_e32 v121, v48, v249                              // 000000006C50: 0AF3F330
	v_mul_f32_e32 v122, v48, v250                              // 000000006C54: 0AF5F530
	v_mul_f32_e32 v123, v48, v251                              // 000000006C58: 0AF7F730
	v_mul_f32_e32 v124, v48, v252                              // 000000006C5C: 0AF9F930
	v_mul_f32_e32 v125, v48, v253                              // 000000006C60: 0AFBFB30
	v_mul_f32_e32 v126, v48, v254                              // 000000006C64: 0AFDFD30
	v_mul_f32_e32 v127, v48, v255                              // 000000006C68: 0AFFFF30
	v_cvt_pk_fp8_f32 v112, v112, v113                          // 000000006C6C: D2A20070 0002E370
	v_cvt_pk_fp8_f32 v112, v114, v115 op_sel:[0,0,1]           // 000000006C74: D2A24070 0002E772
	v_cvt_pk_fp8_f32 v113, v116, v117                          // 000000006C7C: D2A20071 0002EB74
	v_cvt_pk_fp8_f32 v113, v118, v119 op_sel:[0,0,1]           // 000000006C84: D2A24071 0002EF76
	v_cvt_pk_fp8_f32 v114, v120, v121                          // 000000006C8C: D2A20072 0002F378
	v_cvt_pk_fp8_f32 v114, v122, v123 op_sel:[0,0,1]           // 000000006C94: D2A24072 0002F77A
	v_cvt_pk_fp8_f32 v115, v124, v125                          // 000000006C9C: D2A20073 0002FB7C
	v_cvt_pk_fp8_f32 v115, v126, v127 op_sel:[0,0,1]           // 000000006CA4: D2A24073 0002FF7E
	ds_write_b32 v10, v112 offset:25088                        // 000000006CAC: D81A6200 0000700A
	ds_write_b32 v10, v113 offset:26112                        // 000000006CB4: D81A6600 0000710A
	ds_write_b32 v10, v114 offset:27136                        // 000000006CBC: D81A6A00 0000720A
	ds_write_b32 v10, v115 offset:28160                        // 000000006CC4: D81A6E00 0000730A
	v_add_f32_e32 v208, v208, v176                             // 000000006CCC: 03A161D0
	v_add_f32_e32 v209, v209, v177                             // 000000006CD0: 03A363D1
	v_add_f32_e32 v210, v210, v178                             // 000000006CD4: 03A565D2
	v_add_f32_e32 v211, v211, v179                             // 000000006CD8: 03A767D3
	v_add_f32_e32 v212, v212, v180                             // 000000006CDC: 03A969D4
	v_add_f32_e32 v213, v213, v181                             // 000000006CE0: 03AB6BD5
	v_add_f32_e32 v214, v214, v182                             // 000000006CE4: 03AD6DD6
	v_add_f32_e32 v215, v215, v183                             // 000000006CE8: 03AF6FD7
	v_rcp_f32_e32 v44, v48                                     // 000000006CEC: 7E584530
	s_waitcnt lgkmcnt(0)                                       // 000000006CF0: BF8CC07F
	s_barrier                                                  // 000000006CF4: BF8A0000
	ds_read_b64 v[112:113], v9 offset:25088                    // 000000006CF8: D8EC6200 70000009
	ds_read_b64 v[114:115], v9 offset:25216                    // 000000006D00: D8EC6280 72000009
	ds_read_b64 v[116:117], v9 offset:26112                    // 000000006D08: D8EC6600 74000009
	ds_read_b64 v[118:119], v9 offset:26240                    // 000000006D10: D8EC6680 76000009
	ds_read_b64 v[120:121], v9 offset:27136                    // 000000006D18: D8EC6A00 78000009
	ds_read_b64 v[122:123], v9 offset:27264                    // 000000006D20: D8EC6A80 7A000009
	ds_read_b64 v[124:125], v9 offset:28160                    // 000000006D28: D8EC6E00 7C000009
	ds_read_b64 v[126:127], v9 offset:28288                    // 000000006D30: D8EC6E80 7E000009
	s_waitcnt vmcnt(0)                                         // 000000006D38: BF8C0F70
	s_barrier                                                  // 000000006D3C: BF8A0000
	s_waitcnt lgkmcnt(7)                                       // 000000006D40: BF8CC77F
	v_mfma_f32_16x16x32_fp8_fp8 v[176:179], a[96:97], v[112:113], 0// 000000006D44: D3F300B0 0A02E160
	s_waitcnt lgkmcnt(6)                                       // 000000006D4C: BF8CC67F
	v_mfma_f32_16x16x32_fp8_fp8 v[176:179], a[98:99], v[114:115], v[176:179]// 000000006D50: D3F300B0 0EC2E562
	s_waitcnt lgkmcnt(5)                                       // 000000006D58: BF8CC57F
	v_mfma_f32_16x16x32_fp8_fp8 v[176:179], a[100:101], v[116:117], v[176:179]// 000000006D5C: D3F300B0 0EC2E964
	s_waitcnt lgkmcnt(4)                                       // 000000006D64: BF8CC47F
	v_mfma_f32_16x16x32_fp8_fp8 v[176:179], a[102:103], v[118:119], v[176:179]// 000000006D68: D3F300B0 0EC2ED66
	s_waitcnt lgkmcnt(3)                                       // 000000006D70: BF8CC37F
	v_mfma_f32_16x16x32_fp8_fp8 v[176:179], a[104:105], v[120:121], v[176:179]// 000000006D74: D3F300B0 0EC2F168
	s_waitcnt lgkmcnt(2)                                       // 000000006D7C: BF8CC27F
	v_mfma_f32_16x16x32_fp8_fp8 v[176:179], a[106:107], v[122:123], v[176:179]// 000000006D80: D3F300B0 0EC2F56A
	s_waitcnt lgkmcnt(1)                                       // 000000006D88: BF8CC17F
	v_mfma_f32_16x16x32_fp8_fp8 v[176:179], a[108:109], v[124:125], v[176:179]// 000000006D8C: D3F300B0 0EC2F96C
	s_waitcnt lgkmcnt(0)                                       // 000000006D94: BF8CC07F
	v_mfma_f32_16x16x32_fp8_fp8 v[176:179], a[110:111], v[126:127], v[176:179]// 000000006D98: D3F300B0 0EC2FD6E
	v_mfma_f32_16x16x32_fp8_fp8 v[180:183], a[112:113], v[112:113], 0// 000000006DA0: D3F300B4 0A02E170
	v_mfma_f32_16x16x32_fp8_fp8 v[180:183], a[114:115], v[114:115], v[180:183]// 000000006DA8: D3F300B4 0ED2E572
	v_mfma_f32_16x16x32_fp8_fp8 v[180:183], a[116:117], v[116:117], v[180:183]// 000000006DB0: D3F300B4 0ED2E974
	v_mfma_f32_16x16x32_fp8_fp8 v[180:183], a[118:119], v[118:119], v[180:183]// 000000006DB8: D3F300B4 0ED2ED76
	v_mfma_f32_16x16x32_fp8_fp8 v[180:183], a[120:121], v[120:121], v[180:183]// 000000006DC0: D3F300B4 0ED2F178
	v_mfma_f32_16x16x32_fp8_fp8 v[180:183], a[122:123], v[122:123], v[180:183]// 000000006DC8: D3F300B4 0ED2F57A
	v_mfma_f32_16x16x32_fp8_fp8 v[180:183], a[124:125], v[124:125], v[180:183]// 000000006DD0: D3F300B4 0ED2F97C
	v_mfma_f32_16x16x32_fp8_fp8 v[180:183], a[126:127], v[126:127], v[180:183]// 000000006DD8: D3F300B4 0ED2FD7E
	s_nop 4                                                    // 000000006DE0: BF800004
	s_branch label_12FA                                        // 000000006DE4: BF820000

0000000000006de8 <label_12FA>:
	v_mul_f32_e32 v208, v49, v208                              // 000000006DE8: 0BA1A131
	v_mul_f32_e32 v209, v49, v209                              // 000000006DEC: 0BA3A331
	v_mul_f32_e32 v210, v49, v210                              // 000000006DF0: 0BA5A531
	v_mul_f32_e32 v211, v49, v211                              // 000000006DF4: 0BA7A731
	v_mul_f32_e32 v212, v49, v212                              // 000000006DF8: 0BA9A931
	v_mul_f32_e32 v213, v49, v213                              // 000000006DFC: 0BABAB31
	v_mul_f32_e32 v214, v49, v214                              // 000000006E00: 0BADAD31
	v_mul_f32_e32 v215, v49, v215                              // 000000006E04: 0BAFAF31
	v_mul_f32_e32 v176, v44, v176                              // 000000006E08: 0B61612C
	v_mul_f32_e32 v177, v44, v177                              // 000000006E0C: 0B63632C
	v_mul_f32_e32 v178, v44, v178                              // 000000006E10: 0B65652C
	v_mul_f32_e32 v179, v44, v179                              // 000000006E14: 0B67672C
	v_mul_f32_e32 v180, v44, v180                              // 000000006E18: 0B69692C
	v_mul_f32_e32 v181, v44, v181                              // 000000006E1C: 0B6B6B2C
	v_mul_f32_e32 v182, v44, v182                              // 000000006E20: 0B6D6D2C
	v_mul_f32_e32 v183, v44, v183                              // 000000006E24: 0B6F6F2C
	v_add_f32_e32 v208, v208, v176                             // 000000006E28: 03A161D0
	v_add_f32_e32 v209, v209, v177                             // 000000006E2C: 03A363D1
	v_add_f32_e32 v210, v210, v178                             // 000000006E30: 03A565D2
	v_add_f32_e32 v211, v211, v179                             // 000000006E34: 03A767D3
	v_add_f32_e32 v212, v212, v180                             // 000000006E38: 03A969D4
	v_add_f32_e32 v213, v213, v181                             // 000000006E3C: 03AB6BD5
	v_add_f32_e32 v214, v214, v182                             // 000000006E40: 03AD6DD6
	v_add_f32_e32 v215, v215, v183                             // 000000006E44: 03AF6FD7
	ds_write_b32 v8, v38 offset:16896                          // 000000006E48: D81A4200 00002608
	s_waitcnt lgkmcnt(0)                                       // 000000006E50: BF8CC07F
	s_barrier                                                  // 000000006E54: BF8A0000
	ds_read_b32 v64, v7 offset:16896                           // 000000006E58: D86C4200 40000007
	ds_read_b32 v65, v7 offset:16960                           // 000000006E60: D86C4240 41000007
	ds_read_b32 v66, v7 offset:17024                           // 000000006E68: D86C4280 42000007
	ds_read_b32 v67, v7 offset:17088                           // 000000006E70: D86C42C0 43000007
	ds_read_b32 v68, v7 offset:17152                           // 000000006E78: D86C4300 44000007
	ds_read_b32 v69, v7 offset:17216                           // 000000006E80: D86C4340 45000007
	ds_read_b32 v70, v7 offset:17280                           // 000000006E88: D86C4380 46000007
	ds_read_b32 v71, v7 offset:17344                           // 000000006E90: D86C43C0 47000007
	ds_read_b32 v72, v7 offset:17408                           // 000000006E98: D86C4400 48000007
	ds_read_b32 v73, v7 offset:17472                           // 000000006EA0: D86C4440 49000007
	ds_read_b32 v74, v7 offset:17536                           // 000000006EA8: D86C4480 4A000007
	ds_read_b32 v75, v7 offset:17600                           // 000000006EB0: D86C44C0 4B000007
	ds_read_b32 v76, v7 offset:17664                           // 000000006EB8: D86C4500 4C000007
	ds_read_b32 v77, v7 offset:17728                           // 000000006EC0: D86C4540 4D000007
	ds_read_b32 v78, v7 offset:17792                           // 000000006EC8: D86C4580 4E000007
	ds_read_b32 v79, v7 offset:17856                           // 000000006ED0: D86C45C0 4F000007
	s_waitcnt lgkmcnt(0)                                       // 000000006ED8: BF8CC07F
	v_mov_b32_e32 v38, 0                                       // 000000006EDC: 7E4C0280
	v_add_f32_e32 v38, v64, v38                                // 000000006EE0: 024C4D40
	v_add_f32_e32 v38, v65, v38                                // 000000006EE4: 024C4D41
	v_add_f32_e32 v38, v66, v38                                // 000000006EE8: 024C4D42
	v_add_f32_e32 v38, v67, v38                                // 000000006EEC: 024C4D43
	v_add_f32_e32 v38, v68, v38                                // 000000006EF0: 024C4D44
	v_add_f32_e32 v38, v69, v38                                // 000000006EF4: 024C4D45
	v_add_f32_e32 v38, v70, v38                                // 000000006EF8: 024C4D46
	v_add_f32_e32 v38, v71, v38                                // 000000006EFC: 024C4D47
	v_add_f32_e32 v38, v72, v38                                // 000000006F00: 024C4D48
	v_add_f32_e32 v38, v73, v38                                // 000000006F04: 024C4D49
	v_add_f32_e32 v38, v74, v38                                // 000000006F08: 024C4D4A
	v_add_f32_e32 v38, v75, v38                                // 000000006F0C: 024C4D4B
	v_add_f32_e32 v38, v76, v38                                // 000000006F10: 024C4D4C
	v_add_f32_e32 v38, v77, v38                                // 000000006F14: 024C4D4D
	v_add_f32_e32 v38, v78, v38                                // 000000006F18: 024C4D4E
	v_add_f32_e32 v38, v79, v38                                // 000000006F1C: 024C4D4F
	s_nop 1                                                    // 000000006F20: BF800001
	v_rcp_f32_e32 v38, v38                                     // 000000006F24: 7E4C4526
	s_nop 1                                                    // 000000006F28: BF800001
	v_mul_f32_e32 v208, v38, v208                              // 000000006F2C: 0BA1A126
	v_mul_f32_e32 v209, v38, v209                              // 000000006F30: 0BA3A326
	v_mul_f32_e32 v210, v38, v210                              // 000000006F34: 0BA5A526
	v_mul_f32_e32 v211, v38, v211                              // 000000006F38: 0BA7A726
	v_mul_f32_e32 v212, v38, v212                              // 000000006F3C: 0BA9A926
	v_mul_f32_e32 v213, v38, v213                              // 000000006F40: 0BABAB26
	v_mul_f32_e32 v214, v38, v214                              // 000000006F44: 0BADAD26
	v_mul_f32_e32 v215, v38, v215                              // 000000006F48: 0BAFAF26
	v_mov_b32_e32 v19, 0xffff0000                              // 000000006F4C: 7E2602FF FFFF0000
	v_mov_b32_e32 v20, 0x7fff0000                              // 000000006F54: 7E2802FF 7FFF0000
	v_mov_b32_e32 v21, 0x7fff                                  // 000000006F5C: 7E2A02FF 00007FFF
	v_cmp_u_f32_e64 s[40:41], v208, v208                       // 000000006F64: D0480028 0003A1D0
	v_add3_u32 v18, v208, v21, 1                               // 000000006F6C: D1FF0012 02062BD0
	v_cndmask_b32_e64 v64, v18, v20, s[40:41]                  // 000000006F74: D1000040 00A22912
	v_cmp_u_f32_e64 s[40:41], v209, v209                       // 000000006F7C: D0480028 0003A3D1
	v_add3_u32 v18, v209, v21, 1                               // 000000006F84: D1FF0012 02062BD1
	v_cndmask_b32_e64 v65, v18, v20, s[40:41]                  // 000000006F8C: D1000041 00A22912
	v_perm_b32 v208, v65, v64, s52                             // 000000006F94: D1ED00D0 00D28141
	v_cmp_u_f32_e64 s[40:41], v210, v210                       // 000000006F9C: D0480028 0003A5D2
	v_add3_u32 v18, v210, v21, 1                               // 000000006FA4: D1FF0012 02062BD2
	v_cndmask_b32_e64 v64, v18, v20, s[40:41]                  // 000000006FAC: D1000040 00A22912
	v_cmp_u_f32_e64 s[40:41], v211, v211                       // 000000006FB4: D0480028 0003A7D3
	v_add3_u32 v18, v211, v21, 1                               // 000000006FBC: D1FF0012 02062BD3
	v_cndmask_b32_e64 v65, v18, v20, s[40:41]                  // 000000006FC4: D1000041 00A22912
	v_perm_b32 v209, v65, v64, s52                             // 000000006FCC: D1ED00D1 00D28141
	v_cmp_u_f32_e64 s[40:41], v212, v212                       // 000000006FD4: D0480028 0003A9D4
	v_add3_u32 v18, v212, v21, 1                               // 000000006FDC: D1FF0012 02062BD4
	v_cndmask_b32_e64 v64, v18, v20, s[40:41]                  // 000000006FE4: D1000040 00A22912
	v_cmp_u_f32_e64 s[40:41], v213, v213                       // 000000006FEC: D0480028 0003ABD5
	v_add3_u32 v18, v213, v21, 1                               // 000000006FF4: D1FF0012 02062BD5
	v_cndmask_b32_e64 v65, v18, v20, s[40:41]                  // 000000006FFC: D1000041 00A22912
	v_perm_b32 v210, v65, v64, s52                             // 000000007004: D1ED00D2 00D28141
	v_cmp_u_f32_e64 s[40:41], v214, v214                       // 00000000700C: D0480028 0003ADD6
	v_add3_u32 v18, v214, v21, 1                               // 000000007014: D1FF0012 02062BD6
	v_cndmask_b32_e64 v64, v18, v20, s[40:41]                  // 00000000701C: D1000040 00A22912
	v_cmp_u_f32_e64 s[40:41], v215, v215                       // 000000007024: D0480028 0003AFD7
	v_add3_u32 v18, v215, v21, 1                               // 00000000702C: D1FF0012 02062BD7
	v_cndmask_b32_e64 v65, v18, v20, s[40:41]                  // 000000007034: D1000041 00A22912
	v_perm_b32 v211, v65, v64, s52                             // 00000000703C: D1ED00D3 00D28141
	s_nop 1                                                    // 000000007044: BF800001
	v_lshrrev_b32_e32 v64, 4, v0                               // 000000007048: 20800084
	v_mul_i32_i24_e32 v68, 34, v64                             // 00000000704C: 0C8880A2
	v_and_b32_e32 v64, 15, v0                                  // 000000007050: 2680008F
	v_mul_i32_i24_e32 v65, 2, v64                              // 000000007054: 0C828082
	v_add_u32_e32 v68, v65, v68                                // 000000007058: 68888941
	s_mul_i32 s60, s7, 0x88                                    // 00000000705C: 923CFF07 00000088
	v_add_u32_e32 v68, s60, v68                                // 000000007064: 6888883C
	v_lshlrev_b32_e32 v68, 2, v68                              // 000000007068: 24888882
	ds_write_b64 v68, v[208:209] offset:41472                  // 00000000706C: D89AA200 0000D044
	ds_write_b64 v68, v[210:211] offset:43648                  // 000000007074: D89AAA80 0000D244
	v_lshrrev_b32_e32 v64, 1, v0                               // 00000000707C: 20800081
	v_mul_i32_i24_e32 v68, 34, v64                             // 000000007080: 0C8880A2
	v_and_b32_e32 v65, 1, v0                                   // 000000007084: 26820081
	v_add_u32_e32 v68, v65, v68                                // 000000007088: 68888941
	s_mul_i32 s60, s7, 2                                       // 00000000708C: 923C8207
	v_add_u32_e32 v68, s60, v68                                // 000000007090: 6888883C
	v_lshlrev_b32_e32 v68, 2, v68                              // 000000007094: 24888882
	s_waitcnt lgkmcnt(0)                                       // 000000007098: BF8CC07F
	s_barrier                                                  // 00000000709C: BF8A0000
	ds_read_b32 v208, v68 offset:41472                         // 0000000070A0: D86CA200 D0000044
	ds_read_b32 v209, v68 offset:41504                         // 0000000070A8: D86CA220 D1000044
	ds_read_b32 v210, v68 offset:41536                         // 0000000070B0: D86CA240 D2000044
	ds_read_b32 v211, v68 offset:41568                         // 0000000070B8: D86CA260 D3000044
	s_mul_i32 s60, s7, 0x100                                   // 0000000070C0: 923CFF07 00000100
	v_lshlrev_b32_e32 v64, 2, v0                               // 0000000070C8: 24800082
	v_add_u32_e64 v64, v64, s60                                // 0000000070CC: D1340040 00007940
	s_waitcnt lgkmcnt(0)                                       // 0000000070D4: BF8CC07F
	buffer_store_dword v208, v64, s[8:11], 0 offen             // 0000000070D8: E0701000 8002D040
	buffer_store_dword v209, v64, s[8:11], 0 offen offset:1024 // 0000000070E0: E0701400 8002D140
	buffer_store_dword v210, v64, s[8:11], 0 offen offset:2048 // 0000000070E8: E0701800 8002D240
	buffer_store_dword v211, v64, s[8:11], 0 offen offset:3072 // 0000000070F0: E0701C00 8002D340
	s_add_u32 s8, s75, s8                                      // 0000000070F8: 8008084B
	s_addc_u32 s9, 0, s9                                       // 0000000070FC: 82090980
	s_branch label_378A                                        // 000000007100: BF8223C9

0000000000007104 <label_13C1>:
	s_mul_i32 s60, s3, s65                                     // 000000007104: 923C4103
	s_mul_i32 s60, s60, 4                                      // 000000007108: 923C843C
	s_add_u32 s24, s60, s24                                    // 00000000710C: 8018183C
	s_addc_u32 s25, 0, s25                                     // 000000007110: 82191980
	s_mov_b32 s56, 64                                          // 000000007114: BEB800C0
	s_add_u32 s73, s72, 15                                     // 000000007118: 80498F48
	s_lshr_b32 s73, s73, 4                                     // 00000000711C: 8F498449
	s_mul_i32 s60, s73, 4                                      // 000000007120: 923C8449
	s_mov_b32 s26, s60                                         // 000000007124: BE9A003C
	s_sub_u32 s89, s72, s86                                    // 000000007128: 80D95648
	s_mov_b32 s90, 0xff                                        // 00000000712C: BEDA00FF 000000FF
	s_mov_b32 s91, 0x100                                       // 000000007134: BEDB00FF 00000100
	v_and_b32_e32 v65, 3, v0                                   // 00000000713C: 26820083
	v_cmp_eq_u32_e64 s[60:61], 0, v65                          // 000000007140: D0CA003C 00028280
	v_and_b32_e32 v64, 12, v0                                  // 000000007148: 2680008C
	v_add_u32_e32 v1, s7, v64                                  // 00000000714C: 68028007
	v_cndmask_b32_e64 v1, 0, v1, s[60:61]                      // 000000007150: D1000001 00F20280
	v_and_b32_e32 v65, 3, v0                                   // 000000007158: 26820083
	v_cmp_eq_u32_e64 s[60:61], 1, v65                          // 00000000715C: D0CA003C 00028281
	v_lshrrev_b32_e32 v64, 4, v0                               // 000000007164: 20800084
	v_and_b32_e32 v65, 12, v0                                  // 000000007168: 2682008C
	v_add_u32_e32 v64, v65, v64                                // 00000000716C: 68808141
	v_cndmask_b32_e64 v64, 0, v64, s[60:61]                    // 000000007170: D1000040 00F28080
	v_add_u32_e32 v1, v1, v64                                  // 000000007178: 68028101
	v_lshlrev_b32_e32 v1, 2, v1                                // 00000000717C: 24020282
	buffer_load_dword v16, v1, s[24:27], 0 offen               // 000000007180: E0501000 80061001
	v_add_u32_e32 v1, s56, v1                                  // 000000007188: 68020238
	buffer_load_dword v17, v1, s[24:27], 0 offen               // 00000000718C: E0501000 80061101
	s_cmp_le_u32 s73, 32                                       // 000000007194: BF0BA049
	s_cselect_b32 s56, 0, s56                                  // 000000007198: 85383880
	s_mul_i32 s60, s2, s67                                     // 00000000719C: 923C4302
	s_mul_i32 s61, s84, s74                                    // 0000000071A0: 923D4A54
	s_add_u32 s60, s60, s61                                    // 0000000071A4: 803C3D3C
	s_add_u32 s12, s60, s12                                    // 0000000071A8: 800C0C3C
	s_addc_u32 s13, 0, s13                                     // 0000000071AC: 820D0D80
	s_mul_i32 s60, s7, 0x108                                   // 0000000071B0: 923CFF07 00000108
	s_add_u32 m0, 0, s60                                       // 0000000071B8: 807C3C80
	s_mul_i32 s60, s7, 0x100                                   // 0000000071BC: 923CFF07 00000100
	v_lshlrev_b32_e32 v64, 2, v0                               // 0000000071C4: 24800082
	v_add_u32_e64 v64, v64, s60                                // 0000000071C8: D1340040 00007940
	v_add_u32_e32 v65, 0x400, v64                              // 0000000071D0: 688280FF 00000400
	v_add_u32_e32 v66, 0x800, v64                              // 0000000071D8: 688480FF 00000800
	v_add_u32_e32 v67, 0xc00, v64                              // 0000000071E0: 688680FF 00000C00
	buffer_load_dword v64, s[12:15], 0 offen lds               // 0000000071E8: E0511000 80030040
	s_mul_i32 s60, 4, 0x108                                    // 0000000071F0: 923CFF84 00000108
	s_add_u32 m0, m0, s60                                      // 0000000071F8: 807C3C7C
	buffer_load_dword v65, s[12:15], 0 offen lds               // 0000000071FC: E0511000 80030041
	s_mul_i32 s60, 4, 0x108                                    // 000000007204: 923CFF84 00000108
	s_add_u32 m0, m0, s60                                      // 00000000720C: 807C3C7C
	buffer_load_dword v66, s[12:15], 0 offen lds               // 000000007210: E0511000 80030042
	s_mul_i32 s60, 4, 0x108                                    // 000000007218: 923CFF84 00000108
	s_add_u32 m0, m0, s60                                      // 000000007220: 807C3C7C
	buffer_load_dword v67, s[12:15], 0 offen lds               // 000000007224: E0511000 80030043
	s_mul_i32 s60, 4, 0x108                                    // 00000000722C: 923CFF84 00000108
	s_add_u32 m0, m0, s60                                      // 000000007234: 807C3C7C
	s_add_u32 s12, s74, s12                                    // 000000007238: 800C0C4A
	s_addc_u32 s13, 0, s13                                     // 00000000723C: 820D0D80
	buffer_load_dword v64, s[12:15], 0 offen lds               // 000000007240: E0511000 80030040
	s_mul_i32 s60, 4, 0x108                                    // 000000007248: 923CFF84 00000108
	s_add_u32 m0, m0, s60                                      // 000000007250: 807C3C7C
	buffer_load_dword v65, s[12:15], 0 offen lds               // 000000007254: E0511000 80030041
	s_mul_i32 s60, 4, 0x108                                    // 00000000725C: 923CFF84 00000108
	s_add_u32 m0, m0, s60                                      // 000000007264: 807C3C7C
	buffer_load_dword v66, s[12:15], 0 offen lds               // 000000007268: E0511000 80030042
	s_mul_i32 s60, 4, 0x108                                    // 000000007270: 923CFF84 00000108
	s_add_u32 m0, m0, s60                                      // 000000007278: 807C3C7C
	buffer_load_dword v67, s[12:15], 0 offen lds               // 00000000727C: E0511000 80030043
	s_mul_i32 s60, 4, 0x108                                    // 000000007284: 923CFF84 00000108
	s_add_u32 m0, m0, s60                                      // 00000000728C: 807C3C7C
	s_add_u32 s12, s74, s12                                    // 000000007290: 800C0C4A
	s_addc_u32 s13, 0, s13                                     // 000000007294: 820D0D80
	v_lshrrev_b32_e32 v64, 4, v0                               // 000000007298: 20800084
	v_lshlrev_b32_e32 v64, 2, v64                              // 00000000729C: 24808082
	v_and_b32_e32 v65, 3, v0                                   // 0000000072A0: 26820083
	v_add_u32_e32 v64, v65, v64                                // 0000000072A4: 68808141
	v_lshlrev_b32_e32 v59, 2, v64                              // 0000000072A8: 24768082
	v_mov_b32_e32 v60, v59                                     // 0000000072AC: 7E78033B
	s_mul_i32 s60, s2, 64                                      // 0000000072B0: 923CC002
	s_add_u32 s32, s60, s32                                    // 0000000072B4: 8020203C
	s_addc_u32 s33, 0, s33                                     // 0000000072B8: 82212180
	s_add_u32 s36, s60, s36                                    // 0000000072BC: 8024243C
	s_addc_u32 s37, 0, s37                                     // 0000000072C0: 82252580
	s_mul_i32 s60, s2, s76                                     // 0000000072C4: 923C4C02
	s_mul_i32 s61, s84, s75                                    // 0000000072C8: 923D4B54
	s_add_u32 s60, s60, s61                                    // 0000000072CC: 803C3D3C
	s_add_u32 s8, s60, s8                                      // 0000000072D0: 8008083C
	s_addc_u32 s9, 0, s9                                       // 0000000072D4: 82090980
	s_mov_b32 s70, 0                                           // 0000000072D8: BEC60080
	s_and_b32 s71, s72, 0xffffff00                             // 0000000072DC: 8647FF48 FFFFFF00
	s_mov_b32 s42, 0xff00ff00                                  // 0000000072E4: BEAA00FF FF00FF00
	s_mov_b32 s43, 0xff00ff00                                  // 0000000072EC: BEAB00FF FF00FF00
	s_mov_b32 s44, 0xf0f0f0f0                                  // 0000000072F4: BEAC00FF F0F0F0F0
	s_mov_b32 s45, 0xf0f0f0f0                                  // 0000000072FC: BEAD00FF F0F0F0F0
	s_mov_b32 s78, 0xff00ff                                    // 000000007304: BECE00FF 00FF00FF
	s_mov_b32 s79, 0xff00ff                                    // 00000000730C: BECF00FF 00FF00FF
	v_mul_i32_i24_e64 v63, 64, s66                             // 000000007314: D106003F 000084C0
	v_mov_b32_e32 v54, s68                                     // 00000000731C: 7E6C0244
	s_mov_b32 s52, 0x7060302                                   // 000000007320: BEB400FF 07060302
	s_mov_b32 s53, 0x400                                       // 000000007328: BEB500FF 00000400
	s_mov_b32 s54, 0x40100                                     // 000000007330: BEB600FF 00040100
	s_mov_b32 s55, 0x4020100                                   // 000000007338: BEB700FF 04020100
	s_mov_b32 s6, 0x3fb8aa3b                                   // 000000007340: BE8600FF 3FB8AA3B
	v_mov_b32_e32 v11, 0xff800000                              // 000000007348: 7E1602FF FF800000
	v_mov_b32_e32 v12, 0xff800000                              // 000000007350: 7E1802FF FF800000
	v_mov_b32_e32 v49, 0                                       // 000000007358: 7E620280
	v_mov_b32_e32 v50, 0                                       // 00000000735C: 7E640280
	v_mov_b32_e32 v38, 0                                       // 000000007360: 7E4C0280
	v_mov_b32_e32 v39, 0                                       // 000000007364: 7E4E0280
	v_mov_b32_e32 v44, 0                                       // 000000007368: 7E580280
	v_mov_b32_e32 v45, 0                                       // 00000000736C: 7E5A0280
	v_add_u32_e32 v1, s56, v1                                  // 000000007370: 68020238
	v_and_b32_e32 v7, 15, v0                                   // 000000007374: 260E008F
	v_lshlrev_b32_e32 v7, 2, v7                                // 000000007378: 240E0E82
	v_lshlrev_b32_e32 v8, 2, v0                                // 00000000737C: 24100082
	s_mul_i32 s60, 0x100, s7                                   // 000000007380: 923C07FF 00000100
	v_add_u32_e32 v8, s60, v8                                  // 000000007388: 6810103C
	v_lshrrev_b32_e32 v64, 4, v0                               // 00000000738C: 20800084
	v_lshlrev_b32_e32 v65, 6, v64                              // 000000007390: 24828086
	v_and_b32_e32 v64, 15, v0                                  // 000000007394: 2680008F
	v_lshlrev_b32_e32 v64, 1, v64                              // 000000007398: 24808081
	v_add_u32_e32 v65, v64, v65                                // 00000000739C: 68828340
	v_lshlrev_b32_e32 v9, 2, v65                               // 0000000073A0: 24128282
	v_lshrrev_b32_e32 v64, 5, v0                               // 0000000073A4: 20800085
	v_lshlrev_b32_e32 v65, 5, v64                              // 0000000073A8: 24828085
	v_and_b32_e32 v64, 31, v0                                  // 0000000073AC: 2680009F
	v_lshrrev_b32_e32 v66, 4, v64                              // 0000000073B0: 20848084
	v_add_u32_e32 v65, v66, v65                                // 0000000073B4: 68828342
	v_and_b32_e32 v64, 15, v0                                  // 0000000073B8: 2680008F
	v_lshlrev_b32_e32 v64, 1, v64                              // 0000000073BC: 24808081
	v_add_u32_e32 v65, v64, v65                                // 0000000073C0: 68828340
	v_lshlrev_b32_e32 v64, 2, v65                              // 0000000073C4: 24808282
	s_mul_i32 s60, 0x100, s7                                   // 0000000073C8: 923C07FF 00000100
	v_add_u32_e64 v10, v64, s60                                // 0000000073D0: D134000A 00007940
	v_lshlrev_b32_e32 v5, 4, v0                                // 0000000073D8: 240A0084
	s_mul_i32 s60, s2, s69                                     // 0000000073DC: 923C4502
	s_add_u32 s16, s60, s16                                    // 0000000073E0: 8010103C
	s_addc_u32 s17, 0, s17                                     // 0000000073E4: 82111180
	v_and_b32_e32 v64, 15, v0                                  // 0000000073E8: 2680008F
	v_lshlrev_b32_e32 v6, 4, v64                               // 0000000073EC: 240C8084
	s_mul_i32 s61, s2, s69                                     // 0000000073F0: 923D4502
	s_mul_i32 s60, s7, 0x100                                   // 0000000073F4: 923CFF07 00000100
	s_add_u32 s60, s60, s61                                    // 0000000073FC: 803C3D3C
	s_add_u32 s20, s60, s20                                    // 000000007400: 8014143C
	s_addc_u32 s21, 0, s21                                     // 000000007404: 82151580
	s_waitcnt vmcnt(4)                                         // 000000007408: BF8C0F74
	v_mul_u32_u24_dpp v64, v16, v54 row_newbcast:0 row_mask:0xf bank_mask:0xf// 00000000740C: 10806CFA FF015010
	v_mul_u32_u24_dpp v65, v16, v54 row_newbcast:4 row_mask:0xf bank_mask:0xf// 000000007414: 10826CFA FF015410
	v_mul_u32_u24_dpp v66, v16, v54 row_newbcast:8 row_mask:0xf bank_mask:0xf// 00000000741C: 10846CFA FF015810
	v_mul_u32_u24_dpp v67, v16, v54 row_newbcast:12 row_mask:0xf bank_mask:0xf// 000000007424: 10866CFA FF015C10
	v_add_u32_e32 v22, v64, v5                                 // 00000000742C: 682C0B40
	v_add_u32_e32 v23, v65, v5                                 // 000000007430: 682E0B41
	v_add_u32_e32 v24, v66, v5                                 // 000000007434: 68300B42
	v_add_u32_e32 v25, v67, v5                                 // 000000007438: 68320B43
	v_mul_u32_u24_dpp v64, v16, v54 row_newbcast:1 row_mask:0xf bank_mask:0xf// 00000000743C: 10806CFA FF015110
	v_mul_u32_u24_dpp v65, v16, v54 row_newbcast:5 row_mask:0xf bank_mask:0xf// 000000007444: 10826CFA FF015510
	v_mul_u32_u24_dpp v66, v16, v54 row_newbcast:9 row_mask:0xf bank_mask:0xf// 00000000744C: 10846CFA FF015910
	v_mul_u32_u24_dpp v67, v16, v54 row_newbcast:13 row_mask:0xf bank_mask:0xf// 000000007454: 10866CFA FF015D10
	v_add_u32_e32 v30, v64, v6                                 // 00000000745C: 683C0D40
	v_add_u32_e32 v31, v65, v6                                 // 000000007460: 683E0D41
	v_add_u32_e32 v32, v66, v6                                 // 000000007464: 68400D42
	v_add_u32_e32 v33, v67, v6                                 // 000000007468: 68420D43
	v_mul_u32_u24_dpp v64, v16, v63 quad_perm:[0,0,0,0] row_mask:0xf bank_mask:0xf// 00000000746C: 10807EFA FF000010
	v_add_u32_e32 v2, v64, v59                                 // 000000007474: 68047740
	v_mul_u32_u24_dpp v64, v16, v63 quad_perm:[0,0,0,0] row_mask:0xf bank_mask:0xf// 000000007478: 10807EFA FF000010
	v_add_u32_e32 v55, v64, v60                                // 000000007480: 686E7940
	buffer_load_dword v42, v2, s[32:35], 0 offen               // 000000007484: E0501000 80082A02
	buffer_load_dwordx4 a[0:3], v22, s[16:19], 0 offen         // 00000000748C: E05C1000 80840016
	buffer_load_dwordx4 a[4:7], v22, s[16:19], 0 offen offset:1024// 000000007494: E05C1400 80840416
	buffer_load_dwordx4 a[8:11], v23, s[16:19], 0 offen        // 00000000749C: E05C1000 80840817
	buffer_load_dwordx4 a[12:15], v23, s[16:19], 0 offen offset:1024// 0000000074A4: E05C1400 80840C17
	buffer_load_dwordx4 a[16:19], v24, s[16:19], 0 offen       // 0000000074AC: E05C1000 80841018
	buffer_load_dwordx4 a[20:23], v24, s[16:19], 0 offen offset:1024// 0000000074B4: E05C1400 80841418
	buffer_load_dwordx4 a[24:27], v25, s[16:19], 0 offen       // 0000000074BC: E05C1000 80841819
	buffer_load_dwordx4 a[28:31], v25, s[16:19], 0 offen offset:1024// 0000000074C4: E05C1400 80841C19
	buffer_load_dword v57, v55, s[36:39], 0 offen              // 0000000074CC: E0501000 80093937
	buffer_load_dwordx4 a[64:67], v30, s[20:23], 0 offen       // 0000000074D4: E05C1000 8085401E
	buffer_load_dwordx4 a[68:71], v31, s[20:23], 0 offen       // 0000000074DC: E05C1000 8085441F
	buffer_load_dwordx4 a[72:75], v32, s[20:23], 0 offen       // 0000000074E4: E05C1000 80854820
	buffer_load_dwordx4 a[76:79], v33, s[20:23], 0 offen       // 0000000074EC: E05C1000 80854C21
	buffer_load_dwordx4 a[80:83], v30, s[20:23], 0 offen offset:1024// 0000000074F4: E05C1400 8085501E
	buffer_load_dwordx4 a[84:87], v31, s[20:23], 0 offen offset:1024// 0000000074FC: E05C1400 8085541F
	buffer_load_dwordx4 a[88:91], v32, s[20:23], 0 offen offset:1024// 000000007504: E05C1400 80855820
	buffer_load_dwordx4 a[92:95], v33, s[20:23], 0 offen offset:1024// 00000000750C: E05C1400 80855C21
	v_lshrrev_b32_e32 v64, 4, v0                               // 000000007514: 20800084
	v_lshlrev_b32_e32 v65, 1, v64                              // 000000007518: 24828081
	v_and_b32_e32 v64, 15, v0                                  // 00000000751C: 2680008F
	v_mul_i32_i24_e32 v64, 0x42, v64                           // 000000007520: 0C8080FF 00000042
	v_add_u32_e32 v65, v64, v65                                // 000000007528: 68828340
	v_lshlrev_b32_e32 v4, 2, v65                               // 00000000752C: 24088282
	s_mul_i32 s60, s7, 32                                      // 000000007530: 923CA007
	v_add_u32_e32 v4, s60, v4                                  // 000000007534: 6808083C
	s_waitcnt vmcnt(16) lgkmcnt(0)                             // 000000007538: BF8C4070
	s_barrier                                                  // 00000000753C: BF8A0000
	ds_read_b64 v[80:81], v4                                   // 000000007540: D8EC0000 50000004
	ds_read_b64 v[84:85], v4 offset:128                        // 000000007548: D8EC0080 54000004
	s_waitcnt lgkmcnt(0)                                       // 000000007550: BF8CC07F
	v_and_b32_e32 v83, 0xffff0000, v81                         // 000000007554: 26A6A2FF FFFF0000
	v_lshlrev_b32_e32 v82, 16, v81                             // 00000000755C: 24A4A290
	v_and_b32_e32 v81, 0xffff0000, v80                         // 000000007560: 26A2A0FF FFFF0000
	v_lshlrev_b32_e32 v80, 16, v80                             // 000000007568: 24A0A090
	v_and_b32_e32 v87, 0xffff0000, v85                         // 00000000756C: 26AEAAFF FFFF0000
	v_lshlrev_b32_e32 v86, 16, v85                             // 000000007574: 24ACAA90
	v_and_b32_e32 v85, 0xffff0000, v84                         // 000000007578: 26AAA8FF FFFF0000
	v_lshlrev_b32_e32 v84, 16, v84                             // 000000007580: 24A8A890
	v_mov_b32_e32 v48, 0x358637bd                              // 000000007584: 7E6002FF 358637BD
	v_max3_f32 v48, |v80|, |v81|, v48                          // 00000000758C: D1D30330 04C2A350
	v_max3_f32 v48, |v82|, |v83|, v48                          // 000000007594: D1D30330 04C2A752
	v_max3_f32 v48, |v84|, |v85|, v48                          // 00000000759C: D1D30330 04C2AB54
	v_max3_f32 v48, |v86|, |v87|, v48                          // 0000000075A4: D1D30330 04C2AF56
	ds_write_b32 v8, v48 offset:16896                          // 0000000075AC: D81A4200 00003008
	s_waitcnt lgkmcnt(0)                                       // 0000000075B4: BF8CC07F
	s_barrier                                                  // 0000000075B8: BF8A0000
	ds_read_b32 v64, v7 offset:16896                           // 0000000075BC: D86C4200 40000007
	ds_read_b32 v65, v7 offset:16960                           // 0000000075C4: D86C4240 41000007
	ds_read_b32 v66, v7 offset:17024                           // 0000000075CC: D86C4280 42000007
	ds_read_b32 v67, v7 offset:17088                           // 0000000075D4: D86C42C0 43000007
	ds_read_b32 v68, v7 offset:17152                           // 0000000075DC: D86C4300 44000007
	ds_read_b32 v69, v7 offset:17216                           // 0000000075E4: D86C4340 45000007
	ds_read_b32 v70, v7 offset:17280                           // 0000000075EC: D86C4380 46000007
	ds_read_b32 v71, v7 offset:17344                           // 0000000075F4: D86C43C0 47000007
	ds_read_b32 v72, v7 offset:17408                           // 0000000075FC: D86C4400 48000007
	ds_read_b32 v73, v7 offset:17472                           // 000000007604: D86C4440 49000007
	ds_read_b32 v74, v7 offset:17536                           // 00000000760C: D86C4480 4A000007
	ds_read_b32 v75, v7 offset:17600                           // 000000007614: D86C44C0 4B000007
	ds_read_b32 v76, v7 offset:17664                           // 00000000761C: D86C4500 4C000007
	ds_read_b32 v77, v7 offset:17728                           // 000000007624: D86C4540 4D000007
	ds_read_b32 v78, v7 offset:17792                           // 00000000762C: D86C4580 4E000007
	ds_read_b32 v79, v7 offset:17856                           // 000000007634: D86C45C0 4F000007
	s_waitcnt lgkmcnt(0)                                       // 00000000763C: BF8CC07F
	v_max3_f32 v48, |v64|, |v65|, v48                          // 000000007640: D1D30330 04C28340
	v_max3_f32 v48, |v66|, |v67|, v48                          // 000000007648: D1D30330 04C28742
	v_max3_f32 v48, |v68|, |v69|, v48                          // 000000007650: D1D30330 04C28B44
	v_max3_f32 v48, |v70|, |v71|, v48                          // 000000007658: D1D30330 04C28F46
	v_max3_f32 v48, |v72|, |v73|, v48                          // 000000007660: D1D30330 04C29348
	v_max3_f32 v48, |v74|, |v75|, v48                          // 000000007668: D1D30330 04C2974A
	v_max3_f32 v48, |v76|, |v77|, v48                          // 000000007670: D1D30330 04C29B4C
	v_max3_f32 v48, |v78|, |v79|, v48                          // 000000007678: D1D30330 04C29F4E
	v_rcp_f32_e32 v48, v48                                     // 000000007680: 7E604530
	s_nop 1                                                    // 000000007684: BF800001
	v_mul_f32_e32 v48, 0x43e00000, v48                         // 000000007688: 0A6060FF 43E00000
	v_mul_f32_e32 v80, v48, v80                                // 000000007690: 0AA0A130
	v_mul_f32_e32 v81, v48, v81                                // 000000007694: 0AA2A330
	v_mul_f32_e32 v82, v48, v82                                // 000000007698: 0AA4A530
	v_mul_f32_e32 v83, v48, v83                                // 00000000769C: 0AA6A730
	v_mul_f32_e32 v84, v48, v84                                // 0000000076A0: 0AA8A930
	v_mul_f32_e32 v85, v48, v85                                // 0000000076A4: 0AAAAB30
	v_mul_f32_e32 v86, v48, v86                                // 0000000076A8: 0AACAD30
	v_mul_f32_e32 v87, v48, v87                                // 0000000076AC: 0AAEAF30
	v_rcp_f32_e32 v18, v48                                     // 0000000076B0: 7E244530
	v_cvt_pk_fp8_f32 v80, v80, v81                             // 0000000076B4: D2A20050 0002A350
	v_cvt_pk_fp8_f32 v80, v82, v83 op_sel:[0,0,1]              // 0000000076BC: D2A24050 0002A752
	v_cvt_pk_fp8_f32 v81, v84, v85                             // 0000000076C4: D2A20051 0002AB54
	v_cvt_pk_fp8_f32 v81, v86, v87 op_sel:[0,0,1]              // 0000000076CC: D2A24051 0002AF56
	ds_write_b32 v10, v80 offset:25088                         // 0000000076D4: D81A6200 0000500A
	ds_write_b32 v10, v81 offset:26112                         // 0000000076DC: D81A6600 0000510A
	s_waitcnt lgkmcnt(0)                                       // 0000000076E4: BF8CC07F
	s_barrier                                                  // 0000000076E8: BF8A0000
	ds_read_b64 v[80:81], v9 offset:25088                      // 0000000076EC: D8EC6200 50000009
	ds_read_b64 v[82:83], v9 offset:25216                      // 0000000076F4: D8EC6280 52000009
	ds_read_b64 v[84:85], v9 offset:26112                      // 0000000076FC: D8EC6600 54000009
	ds_read_b64 v[86:87], v9 offset:26240                      // 000000007704: D8EC6680 56000009
	v_mov_b32_e32 v208, 0                                      // 00000000770C: 7FA00280
	v_mov_b32_e32 v209, 0                                      // 000000007710: 7FA20280
	v_mov_b32_e32 v210, 0                                      // 000000007714: 7FA40280
	v_mov_b32_e32 v211, 0                                      // 000000007718: 7FA60280
	v_mov_b32_e32 v212, 0                                      // 00000000771C: 7FA80280
	v_mov_b32_e32 v213, 0                                      // 000000007720: 7FAA0280
	v_mov_b32_e32 v214, 0                                      // 000000007724: 7FAC0280
	v_mov_b32_e32 v215, 0                                      // 000000007728: 7FAE0280
	v_mov_b32_e32 v176, 0                                      // 00000000772C: 7F600280
	v_mov_b32_e32 v177, 0                                      // 000000007730: 7F620280
	v_mov_b32_e32 v178, 0                                      // 000000007734: 7F640280
	v_mov_b32_e32 v179, 0                                      // 000000007738: 7F660280
	v_mov_b32_e32 v180, 0                                      // 00000000773C: 7F680280
	v_mov_b32_e32 v181, 0                                      // 000000007740: 7F6A0280
	v_mov_b32_e32 v182, 0                                      // 000000007744: 7F6C0280
	v_mov_b32_e32 v183, 0                                      // 000000007748: 7F6E0280
	ds_read_b64 v[88:89], v4 offset:4224                       // 00000000774C: D8EC1080 58000004
	ds_read_b64 v[92:93], v4 offset:4352                       // 000000007754: D8EC1100 5C000004
	s_waitcnt lgkmcnt(0)                                       // 00000000775C: BF8CC07F
	v_and_b32_e32 v91, 0xffff0000, v89                         // 000000007760: 26B6B2FF FFFF0000
	v_lshlrev_b32_e32 v90, 16, v89                             // 000000007768: 24B4B290
	v_and_b32_e32 v89, 0xffff0000, v88                         // 00000000776C: 26B2B0FF FFFF0000
	v_lshlrev_b32_e32 v88, 16, v88                             // 000000007774: 24B0B090
	v_and_b32_e32 v95, 0xffff0000, v93                         // 000000007778: 26BEBAFF FFFF0000
	v_lshlrev_b32_e32 v94, 16, v93                             // 000000007780: 24BCBA90
	v_and_b32_e32 v93, 0xffff0000, v92                         // 000000007784: 26BAB8FF FFFF0000
	v_lshlrev_b32_e32 v92, 16, v92                             // 00000000778C: 24B8B890
	v_mov_b32_e32 v48, 0x358637bd                              // 000000007790: 7E6002FF 358637BD
	v_max3_f32 v48, |v88|, |v89|, v48                          // 000000007798: D1D30330 04C2B358
	v_max3_f32 v48, |v90|, |v91|, v48                          // 0000000077A0: D1D30330 04C2B75A
	v_max3_f32 v48, |v92|, |v93|, v48                          // 0000000077A8: D1D30330 04C2BB5C
	v_max3_f32 v48, |v94|, |v95|, v48                          // 0000000077B0: D1D30330 04C2BF5E
	ds_write_b32 v8, v48 offset:16896                          // 0000000077B8: D81A4200 00003008
	s_waitcnt lgkmcnt(0)                                       // 0000000077C0: BF8CC07F
	s_barrier                                                  // 0000000077C4: BF8A0000
	ds_read_b32 v64, v7 offset:16896                           // 0000000077C8: D86C4200 40000007
	ds_read_b32 v65, v7 offset:16960                           // 0000000077D0: D86C4240 41000007
	ds_read_b32 v66, v7 offset:17024                           // 0000000077D8: D86C4280 42000007
	ds_read_b32 v67, v7 offset:17088                           // 0000000077E0: D86C42C0 43000007
	ds_read_b32 v68, v7 offset:17152                           // 0000000077E8: D86C4300 44000007
	ds_read_b32 v69, v7 offset:17216                           // 0000000077F0: D86C4340 45000007
	ds_read_b32 v70, v7 offset:17280                           // 0000000077F8: D86C4380 46000007
	ds_read_b32 v71, v7 offset:17344                           // 000000007800: D86C43C0 47000007
	ds_read_b32 v72, v7 offset:17408                           // 000000007808: D86C4400 48000007
	ds_read_b32 v73, v7 offset:17472                           // 000000007810: D86C4440 49000007
	ds_read_b32 v74, v7 offset:17536                           // 000000007818: D86C4480 4A000007
	ds_read_b32 v75, v7 offset:17600                           // 000000007820: D86C44C0 4B000007
	ds_read_b32 v76, v7 offset:17664                           // 000000007828: D86C4500 4C000007
	ds_read_b32 v77, v7 offset:17728                           // 000000007830: D86C4540 4D000007
	ds_read_b32 v78, v7 offset:17792                           // 000000007838: D86C4580 4E000007
	ds_read_b32 v79, v7 offset:17856                           // 000000007840: D86C45C0 4F000007
	s_waitcnt lgkmcnt(0)                                       // 000000007848: BF8CC07F
	v_max3_f32 v48, |v64|, |v65|, v48                          // 00000000784C: D1D30330 04C28340
	v_max3_f32 v48, |v66|, |v67|, v48                          // 000000007854: D1D30330 04C28742
	v_max3_f32 v48, |v68|, |v69|, v48                          // 00000000785C: D1D30330 04C28B44
	v_max3_f32 v48, |v70|, |v71|, v48                          // 000000007864: D1D30330 04C28F46
	v_max3_f32 v48, |v72|, |v73|, v48                          // 00000000786C: D1D30330 04C29348
	v_max3_f32 v48, |v74|, |v75|, v48                          // 000000007874: D1D30330 04C2974A
	v_max3_f32 v48, |v76|, |v77|, v48                          // 00000000787C: D1D30330 04C29B4C
	v_max3_f32 v48, |v78|, |v79|, v48                          // 000000007884: D1D30330 04C29F4E
	v_rcp_f32_e32 v48, v48                                     // 00000000788C: 7E604530
	s_nop 1                                                    // 000000007890: BF800001
	v_mul_f32_e32 v48, 0x43e00000, v48                         // 000000007894: 0A6060FF 43E00000
	v_mul_f32_e32 v88, v48, v88                                // 00000000789C: 0AB0B130
	v_mul_f32_e32 v89, v48, v89                                // 0000000078A0: 0AB2B330
	v_mul_f32_e32 v90, v48, v90                                // 0000000078A4: 0AB4B530
	v_mul_f32_e32 v91, v48, v91                                // 0000000078A8: 0AB6B730
	v_mul_f32_e32 v92, v48, v92                                // 0000000078AC: 0AB8B930
	v_mul_f32_e32 v93, v48, v93                                // 0000000078B0: 0ABABB30
	v_mul_f32_e32 v94, v48, v94                                // 0000000078B4: 0ABCBD30
	v_mul_f32_e32 v95, v48, v95                                // 0000000078B8: 0ABEBF30
	v_rcp_f32_e32 v19, v48                                     // 0000000078BC: 7E264530
	v_cvt_pk_fp8_f32 v88, v88, v89                             // 0000000078C0: D2A20058 0002B358
	v_cvt_pk_fp8_f32 v88, v90, v91 op_sel:[0,0,1]              // 0000000078C8: D2A24058 0002B75A
	v_cvt_pk_fp8_f32 v89, v92, v93                             // 0000000078D0: D2A20059 0002BB5C
	v_cvt_pk_fp8_f32 v89, v94, v95 op_sel:[0,0,1]              // 0000000078D8: D2A24059 0002BF5E
	ds_write_b32 v10, v88 offset:25088                         // 0000000078E0: D81A6200 0000580A
	ds_write_b32 v10, v89 offset:26112                         // 0000000078E8: D81A6600 0000590A
	s_waitcnt lgkmcnt(0)                                       // 0000000078F0: BF8CC07F
	s_barrier                                                  // 0000000078F4: BF8A0000
	ds_read_b64 v[88:89], v9 offset:25088                      // 0000000078F8: D8EC6200 58000009
	ds_read_b64 v[90:91], v9 offset:25216                      // 000000007900: D8EC6280 5A000009
	ds_read_b64 v[92:93], v9 offset:26112                      // 000000007908: D8EC6600 5C000009
	ds_read_b64 v[94:95], v9 offset:26240                      // 000000007910: D8EC6680 5E000009
	v_mov_b32_e32 v216, 0                                      // 000000007918: 7FB00280
	v_mov_b32_e32 v217, 0                                      // 00000000791C: 7FB20280
	v_mov_b32_e32 v218, 0                                      // 000000007920: 7FB40280
	v_mov_b32_e32 v219, 0                                      // 000000007924: 7FB60280
	v_mov_b32_e32 v220, 0                                      // 000000007928: 7FB80280
	v_mov_b32_e32 v221, 0                                      // 00000000792C: 7FBA0280
	v_mov_b32_e32 v222, 0                                      // 000000007930: 7FBC0280
	v_mov_b32_e32 v223, 0                                      // 000000007934: 7FBE0280
	v_mov_b32_e32 v184, 0                                      // 000000007938: 7F700280
	v_mov_b32_e32 v185, 0                                      // 00000000793C: 7F720280
	v_mov_b32_e32 v186, 0                                      // 000000007940: 7F740280
	v_mov_b32_e32 v187, 0                                      // 000000007944: 7F760280
	v_mov_b32_e32 v188, 0                                      // 000000007948: 7F780280
	v_mov_b32_e32 v189, 0                                      // 00000000794C: 7F7A0280
	v_mov_b32_e32 v190, 0                                      // 000000007950: 7F7C0280
	v_mov_b32_e32 v191, 0                                      // 000000007954: 7F7E0280
	s_waitcnt vmcnt(8) lgkmcnt(0)                              // 000000007958: BF8C0078
	s_barrier                                                  // 00000000795C: BF8A0000
	s_cmp_lt_u32 s73, 16                                       // 000000007960: BF0A9049
	s_cbranch_scc1 label_2A75                                  // 000000007964: BF85149B
	s_cmp_lt_i32 s7, 2                                         // 000000007968: BF048207
	s_cbranch_scc0 label_202A                                  // 00000000796C: BF840A4E

0000000000007970 <label_15DC>:
	s_waitcnt vmcnt(8) lgkmcnt(0)                              // 000000007970: BF8C0078
	v_mul_u32_u24_dpp v64, v17, v54 row_newbcast:0 row_mask:0xf bank_mask:0xf// 000000007974: 10806CFA FF015011
	v_mul_u32_u24_dpp v65, v17, v54 row_newbcast:4 row_mask:0xf bank_mask:0xf// 00000000797C: 10826CFA FF015411
	v_mul_u32_u24_dpp v66, v17, v54 row_newbcast:8 row_mask:0xf bank_mask:0xf// 000000007984: 10846CFA FF015811
	v_mul_u32_u24_dpp v67, v17, v54 row_newbcast:12 row_mask:0xf bank_mask:0xf// 00000000798C: 10866CFA FF015C11
	v_add_u32_e32 v26, v64, v5                                 // 000000007994: 68340B40
	v_add_u32_e32 v27, v65, v5                                 // 000000007998: 68360B41
	v_add_u32_e32 v28, v66, v5                                 // 00000000799C: 68380B42
	v_add_u32_e32 v29, v67, v5                                 // 0000000079A0: 683A0B43
	v_mul_u32_u24_dpp v64, v17, v63 quad_perm:[0,0,0,0] row_mask:0xf bank_mask:0xf// 0000000079A4: 10807EFA FF000011
	v_add_u32_e32 v3, v64, v59                                 // 0000000079AC: 68067740
	v_mul_u32_u24_dpp v64, v17, v63 quad_perm:[0,0,0,0] row_mask:0xf bank_mask:0xf// 0000000079B0: 10807EFA FF000011
	v_add_u32_e32 v56, v64, v60                                // 0000000079B8: 68707940
	v_mfma_f32_16x16x32_fp8_fp8 v[112:115], a[0:1], v[80:81], 0// 0000000079BC: D3F30070 0A02A100
	v_mfma_f32_16x16x32_fp8_fp8 v[112:115], a[2:3], v[82:83], v[112:115]// 0000000079C4: D3F30070 0DC2A502
	buffer_load_dwordx4 a[32:35], v26, s[16:19], 0 offen       // 0000000079CC: E05C1000 8084201A
	v_mfma_f32_16x16x32_fp8_fp8 v[112:115], a[4:5], v[84:85], v[112:115]// 0000000079D4: D3F30070 0DC2A904
	v_mfma_f32_16x16x32_fp8_fp8 v[112:115], a[6:7], v[86:87], v[112:115]// 0000000079DC: D3F30070 0DC2AD06
	buffer_load_dword v16, v1, s[24:27], 0 offen               // 0000000079E4: E0501000 80061001
	v_mfma_f32_16x16x32_fp8_fp8 v[116:119], a[8:9], v[80:81], 0// 0000000079EC: D3F30074 0A02A108
	v_mfma_f32_16x16x32_fp8_fp8 v[116:119], a[10:11], v[82:83], v[116:119]// 0000000079F4: D3F30074 0DD2A50A
	buffer_load_dwordx4 a[36:39], v26, s[16:19], 0 offen offset:1024// 0000000079FC: E05C1400 8084241A
	v_mfma_f32_16x16x32_fp8_fp8 v[116:119], a[12:13], v[84:85], v[116:119]// 000000007A04: D3F30074 0DD2A90C
	v_mfma_f32_16x16x32_fp8_fp8 v[116:119], a[14:15], v[86:87], v[116:119]// 000000007A0C: D3F30074 0DD2AD0E
	v_mfma_f32_16x16x32_fp8_fp8 v[120:123], a[16:17], v[80:81], 0// 000000007A14: D3F30078 0A02A110
	v_mfma_f32_16x16x32_fp8_fp8 v[120:123], a[18:19], v[82:83], v[120:123]// 000000007A1C: D3F30078 0DE2A512
	buffer_load_dwordx4 a[40:43], v27, s[16:19], 0 offen       // 000000007A24: E05C1000 8084281B
	v_mfma_f32_16x16x32_fp8_fp8 v[120:123], a[20:21], v[84:85], v[120:123]// 000000007A2C: D3F30078 0DE2A914
	v_mfma_f32_16x16x32_fp8_fp8 v[120:123], a[22:23], v[86:87], v[120:123]// 000000007A34: D3F30078 0DE2AD16
	v_mfma_f32_16x16x32_fp8_fp8 v[124:127], a[24:25], v[80:81], 0// 000000007A3C: D3F3007C 0A02A118
	v_mfma_f32_16x16x32_fp8_fp8 v[124:127], a[26:27], v[82:83], v[124:127]// 000000007A44: D3F3007C 0DF2A51A
	buffer_load_dwordx4 a[44:47], v27, s[16:19], 0 offen offset:1024// 000000007A4C: E05C1400 80842C1B
	v_mfma_f32_16x16x32_fp8_fp8 v[124:127], a[28:29], v[84:85], v[124:127]// 000000007A54: D3F3007C 0DF2A91C
	v_mfma_f32_16x16x32_fp8_fp8 v[124:127], a[30:31], v[86:87], v[124:127]// 000000007A5C: D3F3007C 0DF2AD1E
	v_mfma_f32_16x16x32_fp8_fp8 v[128:131], a[0:1], v[88:89], 0// 000000007A64: D3F30080 0A02B100
	v_mfma_f32_16x16x32_fp8_fp8 v[128:131], a[2:3], v[90:91], v[128:131]// 000000007A6C: D3F30080 0E02B502
	v_mfma_f32_16x16x32_fp8_fp8 v[128:131], a[4:5], v[92:93], v[128:131]// 000000007A74: D3F30080 0E02B904
	v_mfma_f32_16x16x32_fp8_fp8 v[128:131], a[6:7], v[94:95], v[128:131]// 000000007A7C: D3F30080 0E02BD06
	v_mfma_f32_16x16x32_fp8_fp8 v[132:135], a[8:9], v[88:89], 0// 000000007A84: D3F30084 0A02B108
	v_mfma_f32_16x16x32_fp8_fp8 v[132:135], a[10:11], v[90:91], v[132:135]// 000000007A8C: D3F30084 0E12B50A
	v_mfma_f32_16x16x32_fp8_fp8 v[132:135], a[12:13], v[92:93], v[132:135]// 000000007A94: D3F30084 0E12B90C
	v_mfma_f32_16x16x32_fp8_fp8 v[132:135], a[14:15], v[94:95], v[132:135]// 000000007A9C: D3F30084 0E12BD0E
	v_mfma_f32_16x16x32_fp8_fp8 v[136:139], a[16:17], v[88:89], 0// 000000007AA4: D3F30088 0A02B110
	v_mfma_f32_16x16x32_fp8_fp8 v[136:139], a[18:19], v[90:91], v[136:139]// 000000007AAC: D3F30088 0E22B512
	v_mfma_f32_16x16x32_fp8_fp8 v[136:139], a[20:21], v[92:93], v[136:139]// 000000007AB4: D3F30088 0E22B914
	v_mfma_f32_16x16x32_fp8_fp8 v[136:139], a[22:23], v[94:95], v[136:139]// 000000007ABC: D3F30088 0E22BD16
	v_mfma_f32_16x16x32_fp8_fp8 v[140:143], a[24:25], v[88:89], 0// 000000007AC4: D3F3008C 0A02B118
	v_mfma_f32_16x16x32_fp8_fp8 v[140:143], a[26:27], v[90:91], v[140:143]// 000000007ACC: D3F3008C 0E32B51A
	v_mfma_f32_16x16x32_fp8_fp8 v[140:143], a[28:29], v[92:93], v[140:143]// 000000007AD4: D3F3008C 0E32B91C
	v_mfma_f32_16x16x32_fp8_fp8 v[140:143], a[30:31], v[94:95], v[140:143]// 000000007ADC: D3F3008C 0E32BD1E
	buffer_load_dword v43, v3, s[32:35], 0 offen               // 000000007AE4: E0501000 80082B03
	v_mov_b32_dpp v64, v42 row_shr:4 row_mask:0xf bank_mask:0xf// 000000007AEC: 7E8002FA FF01142A
	v_mov_b32_dpp v65, v42 row_shl:4 row_mask:0xf bank_mask:0xf// 000000007AF4: 7E8202FA FF01042A
	v_cndmask_b32_e64 v248, v42, v64, s[44:45]                 // 000000007AFC: D10000F8 00B2812A
	v_cndmask_b32_e64 v249, v65, v42, s[44:45]                 // 000000007B04: D10000F9 00B25541
	v_mov_b32_dpp v64, v248 row_shr:8 row_mask:0xf bank_mask:0xf// 000000007B0C: 7E8002FA FF0118F8
	v_mov_b32_dpp v65, v248 row_shl:8 row_mask:0xf bank_mask:0xf// 000000007B14: 7E8202FA FF0108F8
	v_mov_b32_dpp v66, v249 row_shr:8 row_mask:0xf bank_mask:0xf// 000000007B1C: 7E8402FA FF0118F9
	v_mov_b32_dpp v67, v249 row_shl:8 row_mask:0xf bank_mask:0xf// 000000007B24: 7E8602FA FF0108F9
	v_mov_b32_e32 v68, v248                                    // 000000007B2C: 7E8803F8
	v_mov_b32_e32 v69, v249                                    // 000000007B30: 7E8A03F9
	v_cndmask_b32_e64 v248, v68, v64, s[42:43]                 // 000000007B34: D10000F8 00AA8144
	v_cndmask_b32_e64 v250, v68, v65, s[78:79]                 // 000000007B3C: D10000FA 013A8344
	v_cndmask_b32_e64 v249, v69, v66, s[42:43]                 // 000000007B44: D10000F9 00AA8545
	v_cndmask_b32_e64 v251, v69, v67, s[78:79]                 // 000000007B4C: D10000FB 013A8745
	v_mov_b32_dpp v64, v57 row_shr:4 row_mask:0xf bank_mask:0xf// 000000007B54: 7E8002FA FF011439
	v_mov_b32_dpp v65, v57 row_shl:4 row_mask:0xf bank_mask:0xf// 000000007B5C: 7E8202FA FF010439
	v_cndmask_b32_e64 v252, v57, v64, s[44:45]                 // 000000007B64: D10000FC 00B28139
	v_cndmask_b32_e64 v253, v65, v57, s[44:45]                 // 000000007B6C: D10000FD 00B27341
	v_mov_b32_dpp v64, v252 row_shr:8 row_mask:0xf bank_mask:0xf// 000000007B74: 7E8002FA FF0118FC
	v_mov_b32_dpp v65, v252 row_shl:8 row_mask:0xf bank_mask:0xf// 000000007B7C: 7E8202FA FF0108FC
	v_mov_b32_dpp v66, v253 row_shr:8 row_mask:0xf bank_mask:0xf// 000000007B84: 7E8402FA FF0118FD
	v_mov_b32_dpp v67, v253 row_shl:8 row_mask:0xf bank_mask:0xf// 000000007B8C: 7E8602FA FF0108FD
	v_mov_b32_e32 v68, v252                                    // 000000007B94: 7E8803FC
	v_mov_b32_e32 v69, v253                                    // 000000007B98: 7E8A03FD
	v_cndmask_b32_e64 v252, v68, v64, s[42:43]                 // 000000007B9C: D10000FC 00AA8144
	v_cndmask_b32_e64 v254, v68, v65, s[78:79]                 // 000000007BA4: D10000FE 013A8344
	v_cndmask_b32_e64 v253, v69, v66, s[42:43]                 // 000000007BAC: D10000FD 00AA8545
	v_cndmask_b32_e64 v255, v69, v67, s[78:79]                 // 000000007BB4: D10000FF 013A8745
	buffer_load_dword v58, v56, s[36:39], 0 offen              // 000000007BBC: E0501000 80093A38
	v_mul_f32_e32 v112, v18, v112                              // 000000007BC4: 0AE0E112
	v_mul_f32_e32 v113, v18, v113                              // 000000007BC8: 0AE2E312
	v_mul_f32_e32 v114, v18, v114                              // 000000007BCC: 0AE4E512
	v_mul_f32_e32 v115, v18, v115                              // 000000007BD0: 0AE6E712
	v_mul_f32_e32 v116, v18, v116                              // 000000007BD4: 0AE8E912
	v_mul_f32_e32 v117, v18, v117                              // 000000007BD8: 0AEAEB12
	v_mul_f32_e32 v118, v18, v118                              // 000000007BDC: 0AECED12
	v_mul_f32_e32 v119, v18, v119                              // 000000007BE0: 0AEEEF12
	v_mul_f32_e32 v120, v18, v120                              // 000000007BE4: 0AF0F112
	v_mul_f32_e32 v121, v18, v121                              // 000000007BE8: 0AF2F312
	v_mul_f32_e32 v122, v18, v122                              // 000000007BEC: 0AF4F512
	v_mul_f32_e32 v123, v18, v123                              // 000000007BF0: 0AF6F712
	v_mul_f32_e32 v124, v18, v124                              // 000000007BF4: 0AF8F912
	v_mul_f32_e32 v125, v18, v125                              // 000000007BF8: 0AFAFB12
	v_mul_f32_e32 v126, v18, v126                              // 000000007BFC: 0AFCFD12
	v_mul_f32_e32 v127, v18, v127                              // 000000007C00: 0AFEFF12
	buffer_load_dwordx4 a[48:51], v28, s[16:19], 0 offen       // 000000007C04: E05C1000 8084301C
	v_mul_f32_dpp v112, v248, v112 quad_perm:[0,0,0,0] row_mask:0xf bank_mask:0xf// 000000007C0C: 0AE0E0FA FF0000F8
	v_mul_f32_dpp v113, v248, v113 quad_perm:[1,1,1,1] row_mask:0xf bank_mask:0xf// 000000007C14: 0AE2E2FA FF0055F8
	v_mul_f32_dpp v114, v248, v114 quad_perm:[2,2,2,2] row_mask:0xf bank_mask:0xf// 000000007C1C: 0AE4E4FA FF00AAF8
	v_mul_f32_dpp v115, v248, v115 quad_perm:[3,3,3,3] row_mask:0xf bank_mask:0xf// 000000007C24: 0AE6E6FA FF00FFF8
	v_mul_f32_dpp v116, v249, v116 quad_perm:[0,0,0,0] row_mask:0xf bank_mask:0xf// 000000007C2C: 0AE8E8FA FF0000F9
	v_mul_f32_dpp v117, v249, v117 quad_perm:[1,1,1,1] row_mask:0xf bank_mask:0xf// 000000007C34: 0AEAEAFA FF0055F9
	v_mul_f32_dpp v118, v249, v118 quad_perm:[2,2,2,2] row_mask:0xf bank_mask:0xf// 000000007C3C: 0AECECFA FF00AAF9
	v_mul_f32_dpp v119, v249, v119 quad_perm:[3,3,3,3] row_mask:0xf bank_mask:0xf// 000000007C44: 0AEEEEFA FF00FFF9
	v_mul_f32_dpp v120, v250, v120 quad_perm:[0,0,0,0] row_mask:0xf bank_mask:0xf// 000000007C4C: 0AF0F0FA FF0000FA
	v_mul_f32_dpp v121, v250, v121 quad_perm:[1,1,1,1] row_mask:0xf bank_mask:0xf// 000000007C54: 0AF2F2FA FF0055FA
	v_mul_f32_dpp v122, v250, v122 quad_perm:[2,2,2,2] row_mask:0xf bank_mask:0xf// 000000007C5C: 0AF4F4FA FF00AAFA
	v_mul_f32_dpp v123, v250, v123 quad_perm:[3,3,3,3] row_mask:0xf bank_mask:0xf// 000000007C64: 0AF6F6FA FF00FFFA
	v_mul_f32_dpp v124, v251, v124 quad_perm:[0,0,0,0] row_mask:0xf bank_mask:0xf// 000000007C6C: 0AF8F8FA FF0000FB
	v_mul_f32_dpp v125, v251, v125 quad_perm:[1,1,1,1] row_mask:0xf bank_mask:0xf// 000000007C74: 0AFAFAFA FF0055FB
	v_mul_f32_dpp v126, v251, v126 quad_perm:[2,2,2,2] row_mask:0xf bank_mask:0xf// 000000007C7C: 0AFCFCFA FF00AAFB
	v_mul_f32_dpp v127, v251, v127 quad_perm:[3,3,3,3] row_mask:0xf bank_mask:0xf// 000000007C84: 0AFEFEFA FF00FFFB
	buffer_load_dwordx4 a[52:55], v28, s[16:19], 0 offen offset:1024// 000000007C8C: E05C1400 8084341C
	s_cmp_le_i32 s90, s89                                      // 000000007C94: BF05595A
	s_cbranch_scc1 label_1718                                  // 000000007C98: BF850071
	v_mov_b32_e32 v66, 0xff800000                              // 000000007C9C: 7E8402FF FF800000
	s_mov_b32 s60, s90                                         // 000000007CA4: BEBC005A
	s_add_u32 s61, s89, 0xff                                   // 000000007CA8: 803DFF59 000000FF
	v_mov_b32_e32 v64, s61                                     // 000000007CB0: 7E80023D
	v_lshrrev_b32_e32 v240, 4, v0                              // 000000007CB4: 21E00084
	v_mul_i32_i24_e32 v240, 4, v240                            // 000000007CB8: 0DE1E084
	v_add_u32_e32 v240, s60, v240                              // 000000007CBC: 69E1E03C
	s_mov_b32 s61, 0                                           // 000000007CC0: BEBD0080
	s_mul_i32 s60, 16, s7                                      // 000000007CC4: 923C0790
	v_sub_u32_e64 v240, v240, s61                              // 000000007CC8: D13500F0 00007BF0
	v_add_u32_e32 v240, s60, v240                              // 000000007CD0: 69E1E03C
	v_add_u32_e32 v241, 1, v240                                // 000000007CD4: 69E3E081
	v_add_u32_e32 v242, 2, v240                                // 000000007CD8: 69E5E082
	v_add_u32_e32 v243, 3, v240                                // 000000007CDC: 69E7E083
	v_cmp_le_u32_e64 s[40:41], v240, v64                       // 000000007CE0: D0CB0028 000281F0
	v_add_u32_e32 v240, 64, v240                               // 000000007CE8: 69E1E0C0
	s_nop 0                                                    // 000000007CEC: BF800000
	v_cndmask_b32_e64 v112, v66, v112, s[40:41]                // 000000007CF0: D1000070 00A2E142
	v_cmp_le_u32_e64 s[40:41], v241, v64                       // 000000007CF8: D0CB0028 000281F1
	v_add_u32_e32 v241, 64, v241                               // 000000007D00: 69E3E2C0
	s_nop 0                                                    // 000000007D04: BF800000
	v_cndmask_b32_e64 v113, v66, v113, s[40:41]                // 000000007D08: D1000071 00A2E342
	v_cmp_le_u32_e64 s[40:41], v242, v64                       // 000000007D10: D0CB0028 000281F2
	v_add_u32_e32 v242, 64, v242                               // 000000007D18: 69E5E4C0
	s_nop 0                                                    // 000000007D1C: BF800000
	v_cndmask_b32_e64 v114, v66, v114, s[40:41]                // 000000007D20: D1000072 00A2E542
	v_cmp_le_u32_e64 s[40:41], v243, v64                       // 000000007D28: D0CB0028 000281F3
	v_add_u32_e32 v243, 64, v243                               // 000000007D30: 69E7E6C0
	s_nop 0                                                    // 000000007D34: BF800000
	v_cndmask_b32_e64 v115, v66, v115, s[40:41]                // 000000007D38: D1000073 00A2E742
	v_cmp_le_u32_e64 s[40:41], v240, v64                       // 000000007D40: D0CB0028 000281F0
	v_add_u32_e32 v240, 64, v240                               // 000000007D48: 69E1E0C0
	s_nop 0                                                    // 000000007D4C: BF800000
	v_cndmask_b32_e64 v116, v66, v116, s[40:41]                // 000000007D50: D1000074 00A2E942
	v_cmp_le_u32_e64 s[40:41], v241, v64                       // 000000007D58: D0CB0028 000281F1
	v_add_u32_e32 v241, 64, v241                               // 000000007D60: 69E3E2C0
	s_nop 0                                                    // 000000007D64: BF800000
	v_cndmask_b32_e64 v117, v66, v117, s[40:41]                // 000000007D68: D1000075 00A2EB42
	v_cmp_le_u32_e64 s[40:41], v242, v64                       // 000000007D70: D0CB0028 000281F2
	v_add_u32_e32 v242, 64, v242                               // 000000007D78: 69E5E4C0
	s_nop 0                                                    // 000000007D7C: BF800000
	v_cndmask_b32_e64 v118, v66, v118, s[40:41]                // 000000007D80: D1000076 00A2ED42
	v_cmp_le_u32_e64 s[40:41], v243, v64                       // 000000007D88: D0CB0028 000281F3
	v_add_u32_e32 v243, 64, v243                               // 000000007D90: 69E7E6C0
	s_nop 0                                                    // 000000007D94: BF800000
	v_cndmask_b32_e64 v119, v66, v119, s[40:41]                // 000000007D98: D1000077 00A2EF42
	v_cmp_le_u32_e64 s[40:41], v240, v64                       // 000000007DA0: D0CB0028 000281F0
	v_add_u32_e32 v240, 64, v240                               // 000000007DA8: 69E1E0C0
	s_nop 0                                                    // 000000007DAC: BF800000
	v_cndmask_b32_e64 v120, v66, v120, s[40:41]                // 000000007DB0: D1000078 00A2F142
	v_cmp_le_u32_e64 s[40:41], v241, v64                       // 000000007DB8: D0CB0028 000281F1
	v_add_u32_e32 v241, 64, v241                               // 000000007DC0: 69E3E2C0
	s_nop 0                                                    // 000000007DC4: BF800000
	v_cndmask_b32_e64 v121, v66, v121, s[40:41]                // 000000007DC8: D1000079 00A2F342
	v_cmp_le_u32_e64 s[40:41], v242, v64                       // 000000007DD0: D0CB0028 000281F2
	v_add_u32_e32 v242, 64, v242                               // 000000007DD8: 69E5E4C0
	s_nop 0                                                    // 000000007DDC: BF800000
	v_cndmask_b32_e64 v122, v66, v122, s[40:41]                // 000000007DE0: D100007A 00A2F542
	v_cmp_le_u32_e64 s[40:41], v243, v64                       // 000000007DE8: D0CB0028 000281F3
	v_add_u32_e32 v243, 64, v243                               // 000000007DF0: 69E7E6C0
	s_nop 0                                                    // 000000007DF4: BF800000
	v_cndmask_b32_e64 v123, v66, v123, s[40:41]                // 000000007DF8: D100007B 00A2F742
	v_cmp_le_u32_e64 s[40:41], v240, v64                       // 000000007E00: D0CB0028 000281F0
	v_add_u32_e32 v240, 64, v240                               // 000000007E08: 69E1E0C0
	s_nop 0                                                    // 000000007E0C: BF800000
	v_cndmask_b32_e64 v124, v66, v124, s[40:41]                // 000000007E10: D100007C 00A2F942
	v_cmp_le_u32_e64 s[40:41], v241, v64                       // 000000007E18: D0CB0028 000281F1
	v_add_u32_e32 v241, 64, v241                               // 000000007E20: 69E3E2C0
	s_nop 0                                                    // 000000007E24: BF800000
	v_cndmask_b32_e64 v125, v66, v125, s[40:41]                // 000000007E28: D100007D 00A2FB42
	v_cmp_le_u32_e64 s[40:41], v242, v64                       // 000000007E30: D0CB0028 000281F2
	v_add_u32_e32 v242, 64, v242                               // 000000007E38: 69E5E4C0
	s_nop 0                                                    // 000000007E3C: BF800000
	v_cndmask_b32_e64 v126, v66, v126, s[40:41]                // 000000007E40: D100007E 00A2FD42
	v_cmp_le_u32_e64 s[40:41], v243, v64                       // 000000007E48: D0CB0028 000281F3
	v_add_u32_e32 v243, 64, v243                               // 000000007E50: 69E7E6C0
	s_nop 0                                                    // 000000007E54: BF800000
	v_cndmask_b32_e64 v127, v66, v127, s[40:41]                // 000000007E58: D100007F 00A2FF42

0000000000007e60 <label_1718>:
	v_mov_b32_e32 v48, v112                                    // 000000007E60: 7E600370
	v_max3_f32 v48, v112, v113, v48                            // 000000007E64: D1D30030 04C2E370
	v_max3_f32 v48, v114, v115, v48                            // 000000007E6C: D1D30030 04C2E772
	v_max3_f32 v48, v116, v117, v48                            // 000000007E74: D1D30030 04C2EB74
	v_max3_f32 v48, v118, v119, v48                            // 000000007E7C: D1D30030 04C2EF76
	v_max3_f32 v48, v120, v121, v48                            // 000000007E84: D1D30030 04C2F378
	v_max3_f32 v48, v122, v123, v48                            // 000000007E8C: D1D30030 04C2F77A
	v_max3_f32 v48, v124, v125, v48                            // 000000007E94: D1D30030 04C2FB7C
	v_max3_f32 v48, v126, v127, v48                            // 000000007E9C: D1D30030 04C2FF7E
	ds_write_b32 v8, v48 offset:16896                          // 000000007EA4: D81A4200 00003008
	buffer_load_dwordx4 a[56:59], v29, s[16:19], 0 offen       // 000000007EAC: E05C1000 8084381D
	v_mul_u32_u24_dpp v64, v17, v54 row_newbcast:1 row_mask:0xf bank_mask:0xf// 000000007EB4: 10806CFA FF015111
	v_mul_u32_u24_dpp v65, v17, v54 row_newbcast:5 row_mask:0xf bank_mask:0xf// 000000007EBC: 10826CFA FF015511
	v_mul_u32_u24_dpp v66, v17, v54 row_newbcast:9 row_mask:0xf bank_mask:0xf// 000000007EC4: 10846CFA FF015911
	v_mul_u32_u24_dpp v67, v17, v54 row_newbcast:13 row_mask:0xf bank_mask:0xf// 000000007ECC: 10866CFA FF015D11
	v_add_u32_e32 v34, v64, v6                                 // 000000007ED4: 68440D40
	v_add_u32_e32 v35, v65, v6                                 // 000000007ED8: 68460D41
	v_add_u32_e32 v36, v66, v6                                 // 000000007EDC: 68480D42
	v_add_u32_e32 v37, v67, v6                                 // 000000007EE0: 684A0D43
	v_mul_f32_e32 v208, v49, v208                              // 000000007EE4: 0BA1A131
	v_mul_f32_e32 v209, v49, v209                              // 000000007EE8: 0BA3A331
	v_mul_f32_e32 v210, v49, v210                              // 000000007EEC: 0BA5A531
	v_mul_f32_e32 v211, v49, v211                              // 000000007EF0: 0BA7A731
	v_mul_f32_e32 v212, v49, v212                              // 000000007EF4: 0BA9A931
	v_mul_f32_e32 v213, v49, v213                              // 000000007EF8: 0BABAB31
	v_mul_f32_e32 v214, v49, v214                              // 000000007EFC: 0BADAD31
	v_mul_f32_e32 v215, v49, v215                              // 000000007F00: 0BAFAF31
	s_waitcnt lgkmcnt(0)                                       // 000000007F04: BF8CC07F
	s_barrier                                                  // 000000007F08: BF8A0000
	ds_read_b32 v64, v7 offset:16896                           // 000000007F0C: D86C4200 40000007
	ds_read_b32 v65, v7 offset:16960                           // 000000007F14: D86C4240 41000007
	ds_read_b32 v66, v7 offset:17024                           // 000000007F1C: D86C4280 42000007
	ds_read_b32 v67, v7 offset:17088                           // 000000007F24: D86C42C0 43000007
	ds_read_b32 v68, v7 offset:17152                           // 000000007F2C: D86C4300 44000007
	ds_read_b32 v69, v7 offset:17216                           // 000000007F34: D86C4340 45000007
	ds_read_b32 v70, v7 offset:17280                           // 000000007F3C: D86C4380 46000007
	ds_read_b32 v71, v7 offset:17344                           // 000000007F44: D86C43C0 47000007
	ds_read_b32 v72, v7 offset:17408                           // 000000007F4C: D86C4400 48000007
	ds_read_b32 v73, v7 offset:17472                           // 000000007F54: D86C4440 49000007
	ds_read_b32 v74, v7 offset:17536                           // 000000007F5C: D86C4480 4A000007
	ds_read_b32 v75, v7 offset:17600                           // 000000007F64: D86C44C0 4B000007
	ds_read_b32 v76, v7 offset:17664                           // 000000007F6C: D86C4500 4C000007
	ds_read_b32 v77, v7 offset:17728                           // 000000007F74: D86C4540 4D000007
	ds_read_b32 v78, v7 offset:17792                           // 000000007F7C: D86C4580 4E000007
	ds_read_b32 v79, v7 offset:17856                           // 000000007F84: D86C45C0 4F000007
	buffer_load_dwordx4 a[60:63], v29, s[16:19], 0 offen offset:1024// 000000007F8C: E05C1400 80843C1D
	v_mul_f32_e32 v176, v44, v176                              // 000000007F94: 0B61612C
	v_mul_f32_e32 v177, v44, v177                              // 000000007F98: 0B63632C
	v_mul_f32_e32 v178, v44, v178                              // 000000007F9C: 0B65652C
	v_mul_f32_e32 v179, v44, v179                              // 000000007FA0: 0B67672C
	v_mul_f32_e32 v180, v44, v180                              // 000000007FA4: 0B69692C
	v_mul_f32_e32 v181, v44, v181                              // 000000007FA8: 0B6B6B2C
	v_mul_f32_e32 v182, v44, v182                              // 000000007FAC: 0B6D6D2C
	v_mul_f32_e32 v183, v44, v183                              // 000000007FB0: 0B6F6F2C
	s_waitcnt lgkmcnt(0)                                       // 000000007FB4: BF8CC07F
	v_max3_f32 v48, v64, v65, v48                              // 000000007FB8: D1D30030 04C28340
	v_max3_f32 v48, v66, v67, v48                              // 000000007FC0: D1D30030 04C28742
	v_max3_f32 v48, v68, v69, v48                              // 000000007FC8: D1D30030 04C28B44
	v_max3_f32 v48, v70, v71, v48                              // 000000007FD0: D1D30030 04C28F46
	v_max3_f32 v48, v72, v73, v48                              // 000000007FD8: D1D30030 04C29348
	v_max3_f32 v48, v74, v75, v48                              // 000000007FE0: D1D30030 04C2974A
	v_max3_f32 v48, v76, v77, v48                              // 000000007FE8: D1D30030 04C29B4C
	v_max3_f32 v48, v78, v79, v48                              // 000000007FF0: D1D30030 04C29F4E
	buffer_load_dwordx4 a[96:99], v34, s[20:23], 0 offen       // 000000007FF8: E05C1000 80856022
	v_mov_b32_e32 v64, 0xff800000                              // 000000008000: 7E8002FF FF800000
	v_cmp_eq_u32_e64 s[40:41], v64, v11                        // 000000008008: D0CA0028 00021740
	s_nop 1                                                    // 000000008010: BF800001
	v_max_f32_e32 v15, v48, v11                                // 000000008014: 161E1730
	v_mul_f32_e32 v53, s64, v15                                // 000000008018: 0A6A1E40
	v_fma_f32 v112, v112, s64, -v53                            // 00000000801C: D1CB0070 84D48170
	v_fma_f32 v113, v113, s64, -v53                            // 000000008024: D1CB0071 84D48171
	v_fma_f32 v114, v114, s64, -v53                            // 00000000802C: D1CB0072 84D48172
	v_fma_f32 v115, v115, s64, -v53                            // 000000008034: D1CB0073 84D48173
	v_fma_f32 v116, v116, s64, -v53                            // 00000000803C: D1CB0074 84D48174
	v_fma_f32 v117, v117, s64, -v53                            // 000000008044: D1CB0075 84D48175
	v_fma_f32 v118, v118, s64, -v53                            // 00000000804C: D1CB0076 84D48176
	v_fma_f32 v119, v119, s64, -v53                            // 000000008054: D1CB0077 84D48177
	v_fma_f32 v120, v120, s64, -v53                            // 00000000805C: D1CB0078 84D48178
	v_fma_f32 v121, v121, s64, -v53                            // 000000008064: D1CB0079 84D48179
	v_fma_f32 v122, v122, s64, -v53                            // 00000000806C: D1CB007A 84D4817A
	v_fma_f32 v123, v123, s64, -v53                            // 000000008074: D1CB007B 84D4817B
	v_fma_f32 v124, v124, s64, -v53                            // 00000000807C: D1CB007C 84D4817C
	v_fma_f32 v125, v125, s64, -v53                            // 000000008084: D1CB007D 84D4817D
	v_fma_f32 v126, v126, s64, -v53                            // 00000000808C: D1CB007E 84D4817E
	v_fma_f32 v127, v127, s64, -v53                            // 000000008094: D1CB007F 84D4817F
	buffer_load_dwordx4 a[100:103], v35, s[20:23], 0 offen     // 00000000809C: E05C1000 80856423
	v_exp_f32_e32 v112, v112                                   // 0000000080A4: 7EE04170
	v_exp_f32_e32 v113, v113                                   // 0000000080A8: 7EE24171
	v_exp_f32_e32 v114, v114                                   // 0000000080AC: 7EE44172
	v_exp_f32_e32 v115, v115                                   // 0000000080B0: 7EE64173
	v_exp_f32_e32 v116, v116                                   // 0000000080B4: 7EE84174
	v_exp_f32_e32 v117, v117                                   // 0000000080B8: 7EEA4175
	v_exp_f32_e32 v118, v118                                   // 0000000080BC: 7EEC4176
	v_exp_f32_e32 v119, v119                                   // 0000000080C0: 7EEE4177
	v_exp_f32_e32 v120, v120                                   // 0000000080C4: 7EF04178
	v_exp_f32_e32 v121, v121                                   // 0000000080C8: 7EF24179
	v_exp_f32_e32 v122, v122                                   // 0000000080CC: 7EF4417A
	v_exp_f32_e32 v123, v123                                   // 0000000080D0: 7EF6417B
	v_exp_f32_e32 v124, v124                                   // 0000000080D4: 7EF8417C
	v_exp_f32_e32 v125, v125                                   // 0000000080D8: 7EFA417D
	v_exp_f32_e32 v126, v126                                   // 0000000080DC: 7EFC417E
	v_exp_f32_e32 v127, v127                                   // 0000000080E0: 7EFE417F
	buffer_load_dwordx4 a[104:107], v36, s[20:23], 0 offen     // 0000000080E4: E05C1000 80856824
	v_mul_f32_dpp v240, v252, v112 quad_perm:[0,0,0,0] row_mask:0xf bank_mask:0xf// 0000000080EC: 0BE0E0FA FF0000FC
	v_mul_f32_dpp v241, v252, v113 quad_perm:[1,1,1,1] row_mask:0xf bank_mask:0xf// 0000000080F4: 0BE2E2FA FF0055FC
	v_mul_f32_dpp v242, v252, v114 quad_perm:[2,2,2,2] row_mask:0xf bank_mask:0xf// 0000000080FC: 0BE4E4FA FF00AAFC
	v_mul_f32_dpp v243, v252, v115 quad_perm:[3,3,3,3] row_mask:0xf bank_mask:0xf// 000000008104: 0BE6E6FA FF00FFFC
	v_mul_f32_dpp v244, v253, v116 quad_perm:[0,0,0,0] row_mask:0xf bank_mask:0xf// 00000000810C: 0BE8E8FA FF0000FD
	v_mul_f32_dpp v245, v253, v117 quad_perm:[1,1,1,1] row_mask:0xf bank_mask:0xf// 000000008114: 0BEAEAFA FF0055FD
	v_mul_f32_dpp v246, v253, v118 quad_perm:[2,2,2,2] row_mask:0xf bank_mask:0xf// 00000000811C: 0BECECFA FF00AAFD
	v_mul_f32_dpp v247, v253, v119 quad_perm:[3,3,3,3] row_mask:0xf bank_mask:0xf// 000000008124: 0BEEEEFA FF00FFFD
	v_mul_f32_dpp v248, v254, v120 quad_perm:[0,0,0,0] row_mask:0xf bank_mask:0xf// 00000000812C: 0BF0F0FA FF0000FE
	v_mul_f32_dpp v249, v254, v121 quad_perm:[1,1,1,1] row_mask:0xf bank_mask:0xf// 000000008134: 0BF2F2FA FF0055FE
	v_mul_f32_dpp v250, v254, v122 quad_perm:[2,2,2,2] row_mask:0xf bank_mask:0xf// 00000000813C: 0BF4F4FA FF00AAFE
	v_mul_f32_dpp v251, v254, v123 quad_perm:[3,3,3,3] row_mask:0xf bank_mask:0xf// 000000008144: 0BF6F6FA FF00FFFE
	v_mul_f32_dpp v252, v255, v124 quad_perm:[0,0,0,0] row_mask:0xf bank_mask:0xf// 00000000814C: 0BF8F8FA FF0000FF
	v_mul_f32_dpp v253, v255, v125 quad_perm:[1,1,1,1] row_mask:0xf bank_mask:0xf// 000000008154: 0BFAFAFA FF0055FF
	v_mul_f32_dpp v254, v255, v126 quad_perm:[2,2,2,2] row_mask:0xf bank_mask:0xf// 00000000815C: 0BFCFCFA FF00AAFF
	v_mul_f32_dpp v255, v255, v127 quad_perm:[3,3,3,3] row_mask:0xf bank_mask:0xf// 000000008164: 0BFEFEFA FF00FFFF
	v_mov_b32_e32 v48, 0x358637bd                              // 00000000816C: 7E6002FF 358637BD
	v_max3_f32 v48, |v240|, |v241|, v48                        // 000000008174: D1D30330 04C3E3F0
	v_max3_f32 v48, |v242|, |v243|, v48                        // 00000000817C: D1D30330 04C3E7F2
	v_max3_f32 v48, |v244|, |v245|, v48                        // 000000008184: D1D30330 04C3EBF4
	v_max3_f32 v48, |v246|, |v247|, v48                        // 00000000818C: D1D30330 04C3EFF6
	v_max3_f32 v48, |v248|, |v249|, v48                        // 000000008194: D1D30330 04C3F3F8
	v_max3_f32 v48, |v250|, |v251|, v48                        // 00000000819C: D1D30330 04C3F7FA
	v_max3_f32 v48, |v252|, |v253|, v48                        // 0000000081A4: D1D30330 04C3FBFC
	v_max3_f32 v48, |v254|, |v255|, v48                        // 0000000081AC: D1D30330 04C3FFFE
	buffer_load_dwordx4 a[108:111], v37, s[20:23], 0 offen     // 0000000081B4: E05C1000 80856C25
	ds_write_b32 v8, v48 offset:20992                          // 0000000081BC: D81A5200 00003008
	v_sub_f32_e32 v49, v11, v15                                // 0000000081C4: 04621F0B
	v_cndmask_b32_e64 v49, v49, 0, s[40:41]                    // 0000000081C8: D1000031 00A10131
	v_mov_b32_e32 v11, v15                                     // 0000000081D0: 7E16030F
	v_mul_f32_e32 v49, s64, v49                                // 0000000081D4: 0A626240
	v_exp_f32_e32 v49, v49                                     // 0000000081D8: 7E624131
	s_waitcnt lgkmcnt(0)                                       // 0000000081DC: BF8CC07F
	s_barrier                                                  // 0000000081E0: BF8A0000
	ds_read_b32 v64, v7 offset:20992                           // 0000000081E4: D86C5200 40000007
	ds_read_b32 v65, v7 offset:21056                           // 0000000081EC: D86C5240 41000007
	ds_read_b32 v66, v7 offset:21120                           // 0000000081F4: D86C5280 42000007
	ds_read_b32 v67, v7 offset:21184                           // 0000000081FC: D86C52C0 43000007
	ds_read_b32 v68, v7 offset:21248                           // 000000008204: D86C5300 44000007
	ds_read_b32 v69, v7 offset:21312                           // 00000000820C: D86C5340 45000007
	ds_read_b32 v70, v7 offset:21376                           // 000000008214: D86C5380 46000007
	ds_read_b32 v71, v7 offset:21440                           // 00000000821C: D86C53C0 47000007
	ds_read_b32 v72, v7 offset:21504                           // 000000008224: D86C5400 48000007
	ds_read_b32 v73, v7 offset:21568                           // 00000000822C: D86C5440 49000007
	ds_read_b32 v74, v7 offset:21632                           // 000000008234: D86C5480 4A000007
	ds_read_b32 v75, v7 offset:21696                           // 00000000823C: D86C54C0 4B000007
	ds_read_b32 v76, v7 offset:21760                           // 000000008244: D86C5500 4C000007
	ds_read_b32 v77, v7 offset:21824                           // 00000000824C: D86C5540 4D000007
	ds_read_b32 v78, v7 offset:21888                           // 000000008254: D86C5580 4E000007
	ds_read_b32 v79, v7 offset:21952                           // 00000000825C: D86C55C0 4F000007
	v_mul_f32_e32 v38, v49, v38                                // 000000008264: 0A4C4D31
	v_mov_b32_e32 v15, v112                                    // 000000008268: 7E1E0370
	v_add_f32_e32 v15, v113, v15                               // 00000000826C: 021E1F71
	v_add_f32_e32 v15, v114, v15                               // 000000008270: 021E1F72
	v_add_f32_e32 v15, v115, v15                               // 000000008274: 021E1F73
	v_add_f32_e32 v15, v116, v15                               // 000000008278: 021E1F74
	v_add_f32_e32 v15, v117, v15                               // 00000000827C: 021E1F75
	v_add_f32_e32 v15, v118, v15                               // 000000008280: 021E1F76
	v_add_f32_e32 v15, v119, v15                               // 000000008284: 021E1F77
	v_add_f32_e32 v15, v120, v15                               // 000000008288: 021E1F78
	v_add_f32_e32 v15, v121, v15                               // 00000000828C: 021E1F79
	v_add_f32_e32 v15, v122, v15                               // 000000008290: 021E1F7A
	v_add_f32_e32 v15, v123, v15                               // 000000008294: 021E1F7B
	v_add_f32_e32 v15, v124, v15                               // 000000008298: 021E1F7C
	v_add_f32_e32 v15, v125, v15                               // 00000000829C: 021E1F7D
	v_add_f32_e32 v15, v126, v15                               // 0000000082A0: 021E1F7E
	v_add_f32_e32 v15, v127, v15                               // 0000000082A4: 021E1F7F
	v_add_f32_e32 v38, v15, v38                                // 0000000082A8: 024C4D0F
	s_waitcnt lgkmcnt(0)                                       // 0000000082AC: BF8CC07F
	v_max3_f32 v48, |v64|, |v65|, v48                          // 0000000082B0: D1D30330 04C28340
	v_max3_f32 v48, |v66|, |v67|, v48                          // 0000000082B8: D1D30330 04C28742
	v_max3_f32 v48, |v68|, |v69|, v48                          // 0000000082C0: D1D30330 04C28B44
	v_max3_f32 v48, |v70|, |v71|, v48                          // 0000000082C8: D1D30330 04C28F46
	v_max3_f32 v48, |v72|, |v73|, v48                          // 0000000082D0: D1D30330 04C29348
	v_max3_f32 v48, |v74|, |v75|, v48                          // 0000000082D8: D1D30330 04C2974A
	v_max3_f32 v48, |v76|, |v77|, v48                          // 0000000082E0: D1D30330 04C29B4C
	v_max3_f32 v48, |v78|, |v79|, v48                          // 0000000082E8: D1D30330 04C29F4E
	s_nop 2                                                    // 0000000082F0: BF800002
	v_rcp_f32_e32 v48, v48                                     // 0000000082F4: 7E604530
	s_nop 1                                                    // 0000000082F8: BF800001
	v_mul_f32_e32 v48, 0x43e00000, v48                         // 0000000082FC: 0A6060FF 43E00000
	v_mul_f32_e32 v112, v48, v240                              // 000000008304: 0AE1E130
	v_mul_f32_e32 v113, v48, v241                              // 000000008308: 0AE3E330
	v_mul_f32_e32 v114, v48, v242                              // 00000000830C: 0AE5E530
	v_mul_f32_e32 v115, v48, v243                              // 000000008310: 0AE7E730
	v_mul_f32_e32 v116, v48, v244                              // 000000008314: 0AE9E930
	v_mul_f32_e32 v117, v48, v245                              // 000000008318: 0AEBEB30
	v_mul_f32_e32 v118, v48, v246                              // 00000000831C: 0AEDED30
	v_mul_f32_e32 v119, v48, v247                              // 000000008320: 0AEFEF30
	v_mul_f32_e32 v120, v48, v248                              // 000000008324: 0AF1F130
	v_mul_f32_e32 v121, v48, v249                              // 000000008328: 0AF3F330
	v_mul_f32_e32 v122, v48, v250                              // 00000000832C: 0AF5F530
	v_mul_f32_e32 v123, v48, v251                              // 000000008330: 0AF7F730
	v_mul_f32_e32 v124, v48, v252                              // 000000008334: 0AF9F930
	v_mul_f32_e32 v125, v48, v253                              // 000000008338: 0AFBFB30
	v_mul_f32_e32 v126, v48, v254                              // 00000000833C: 0AFDFD30
	v_mul_f32_e32 v127, v48, v255                              // 000000008340: 0AFFFF30
	v_cvt_pk_fp8_f32 v112, v112, v113                          // 000000008344: D2A20070 0002E370
	v_cvt_pk_fp8_f32 v112, v114, v115 op_sel:[0,0,1]           // 00000000834C: D2A24070 0002E772
	v_cvt_pk_fp8_f32 v113, v116, v117                          // 000000008354: D2A20071 0002EB74
	v_cvt_pk_fp8_f32 v113, v118, v119 op_sel:[0,0,1]           // 00000000835C: D2A24071 0002EF76
	v_cvt_pk_fp8_f32 v114, v120, v121                          // 000000008364: D2A20072 0002F378
	v_cvt_pk_fp8_f32 v114, v122, v123 op_sel:[0,0,1]           // 00000000836C: D2A24072 0002F77A
	v_cvt_pk_fp8_f32 v115, v124, v125                          // 000000008374: D2A20073 0002FB7C
	v_cvt_pk_fp8_f32 v115, v126, v127 op_sel:[0,0,1]           // 00000000837C: D2A24073 0002FF7E
	ds_write_b32 v10, v112 offset:25088                        // 000000008384: D81A6200 0000700A
	ds_write_b32 v10, v113 offset:26112                        // 00000000838C: D81A6600 0000710A
	ds_write_b32 v10, v114 offset:27136                        // 000000008394: D81A6A00 0000720A
	ds_write_b32 v10, v115 offset:28160                        // 00000000839C: D81A6E00 0000730A
	v_add_f32_e32 v208, v208, v176                             // 0000000083A4: 03A161D0
	v_add_f32_e32 v209, v209, v177                             // 0000000083A8: 03A363D1
	v_add_f32_e32 v210, v210, v178                             // 0000000083AC: 03A565D2
	v_add_f32_e32 v211, v211, v179                             // 0000000083B0: 03A767D3
	v_add_f32_e32 v212, v212, v180                             // 0000000083B4: 03A969D4
	v_add_f32_e32 v213, v213, v181                             // 0000000083B8: 03AB6BD5
	v_add_f32_e32 v214, v214, v182                             // 0000000083BC: 03AD6DD6
	v_add_f32_e32 v215, v215, v183                             // 0000000083C0: 03AF6FD7
	v_rcp_f32_e32 v44, v48                                     // 0000000083C4: 7E584530
	s_waitcnt lgkmcnt(0)                                       // 0000000083C8: BF8CC07F
	s_barrier                                                  // 0000000083CC: BF8A0000
	ds_read_b64 v[112:113], v9 offset:25088                    // 0000000083D0: D8EC6200 70000009
	ds_read_b64 v[114:115], v9 offset:25216                    // 0000000083D8: D8EC6280 72000009
	ds_read_b64 v[116:117], v9 offset:26112                    // 0000000083E0: D8EC6600 74000009
	ds_read_b64 v[118:119], v9 offset:26240                    // 0000000083E8: D8EC6680 76000009
	ds_read_b64 v[120:121], v9 offset:27136                    // 0000000083F0: D8EC6A00 78000009
	ds_read_b64 v[122:123], v9 offset:27264                    // 0000000083F8: D8EC6A80 7A000009
	ds_read_b64 v[124:125], v9 offset:28160                    // 000000008400: D8EC6E00 7C000009
	ds_read_b64 v[126:127], v9 offset:28288                    // 000000008408: D8EC6E80 7E000009
	v_mov_b32_dpp v64, v42 row_shr:4 row_mask:0xf bank_mask:0xf// 000000008410: 7E8002FA FF01142A
	v_mov_b32_dpp v65, v42 row_shl:4 row_mask:0xf bank_mask:0xf// 000000008418: 7E8202FA FF01042A
	v_cndmask_b32_e64 v248, v42, v64, s[44:45]                 // 000000008420: D10000F8 00B2812A
	v_cndmask_b32_e64 v249, v65, v42, s[44:45]                 // 000000008428: D10000F9 00B25541
	v_mov_b32_dpp v64, v248 row_shr:8 row_mask:0xf bank_mask:0xf// 000000008430: 7E8002FA FF0118F8
	v_mov_b32_dpp v65, v248 row_shl:8 row_mask:0xf bank_mask:0xf// 000000008438: 7E8202FA FF0108F8
	v_mov_b32_dpp v66, v249 row_shr:8 row_mask:0xf bank_mask:0xf// 000000008440: 7E8402FA FF0118F9
	v_mov_b32_dpp v67, v249 row_shl:8 row_mask:0xf bank_mask:0xf// 000000008448: 7E8602FA FF0108F9
	v_mov_b32_e32 v68, v248                                    // 000000008450: 7E8803F8
	v_mov_b32_e32 v69, v249                                    // 000000008454: 7E8A03F9
	v_cndmask_b32_e64 v248, v68, v64, s[42:43]                 // 000000008458: D10000F8 00AA8144
	v_cndmask_b32_e64 v250, v68, v65, s[78:79]                 // 000000008460: D10000FA 013A8344
	v_cndmask_b32_e64 v249, v69, v66, s[42:43]                 // 000000008468: D10000F9 00AA8545
	v_cndmask_b32_e64 v251, v69, v67, s[78:79]                 // 000000008470: D10000FB 013A8745
	v_mov_b32_dpp v64, v57 row_shr:4 row_mask:0xf bank_mask:0xf// 000000008478: 7E8002FA FF011439
	v_mov_b32_dpp v65, v57 row_shl:4 row_mask:0xf bank_mask:0xf// 000000008480: 7E8202FA FF010439
	v_cndmask_b32_e64 v252, v57, v64, s[44:45]                 // 000000008488: D10000FC 00B28139
	v_cndmask_b32_e64 v253, v65, v57, s[44:45]                 // 000000008490: D10000FD 00B27341
	v_mov_b32_dpp v64, v252 row_shr:8 row_mask:0xf bank_mask:0xf// 000000008498: 7E8002FA FF0118FC
	v_mov_b32_dpp v65, v252 row_shl:8 row_mask:0xf bank_mask:0xf// 0000000084A0: 7E8202FA FF0108FC
	v_mov_b32_dpp v66, v253 row_shr:8 row_mask:0xf bank_mask:0xf// 0000000084A8: 7E8402FA FF0118FD
	v_mov_b32_dpp v67, v253 row_shl:8 row_mask:0xf bank_mask:0xf// 0000000084B0: 7E8602FA FF0108FD
	v_mov_b32_e32 v68, v252                                    // 0000000084B8: 7E8803FC
	v_mov_b32_e32 v69, v253                                    // 0000000084BC: 7E8A03FD
	v_cndmask_b32_e64 v252, v68, v64, s[42:43]                 // 0000000084C0: D10000FC 00AA8144
	v_cndmask_b32_e64 v254, v68, v65, s[78:79]                 // 0000000084C8: D10000FE 013A8344
	v_cndmask_b32_e64 v253, v69, v66, s[42:43]                 // 0000000084D0: D10000FD 00AA8545
	v_cndmask_b32_e64 v255, v69, v67, s[78:79]                 // 0000000084D8: D10000FF 013A8745
	v_mul_f32_e32 v128, v19, v128                              // 0000000084E0: 0B010113
	v_mul_f32_e32 v129, v19, v129                              // 0000000084E4: 0B030313
	v_mul_f32_e32 v130, v19, v130                              // 0000000084E8: 0B050513
	v_mul_f32_e32 v131, v19, v131                              // 0000000084EC: 0B070713
	v_mul_f32_e32 v132, v19, v132                              // 0000000084F0: 0B090913
	v_mul_f32_e32 v133, v19, v133                              // 0000000084F4: 0B0B0B13
	v_mul_f32_e32 v134, v19, v134                              // 0000000084F8: 0B0D0D13
	v_mul_f32_e32 v135, v19, v135                              // 0000000084FC: 0B0F0F13
	v_mul_f32_e32 v136, v19, v136                              // 000000008500: 0B111113
	v_mul_f32_e32 v137, v19, v137                              // 000000008504: 0B131313
	v_mul_f32_e32 v138, v19, v138                              // 000000008508: 0B151513
	v_mul_f32_e32 v139, v19, v139                              // 00000000850C: 0B171713
	v_mul_f32_e32 v140, v19, v140                              // 000000008510: 0B191913
	v_mul_f32_e32 v141, v19, v141                              // 000000008514: 0B1B1B13
	v_mul_f32_e32 v142, v19, v142                              // 000000008518: 0B1D1D13
	v_mul_f32_e32 v143, v19, v143                              // 00000000851C: 0B1F1F13
	v_mul_f32_dpp v128, v248, v128 quad_perm:[0,0,0,0] row_mask:0xf bank_mask:0xf// 000000008520: 0B0100FA FF0000F8
	v_mul_f32_dpp v129, v248, v129 quad_perm:[1,1,1,1] row_mask:0xf bank_mask:0xf// 000000008528: 0B0302FA FF0055F8
	v_mul_f32_dpp v130, v248, v130 quad_perm:[2,2,2,2] row_mask:0xf bank_mask:0xf// 000000008530: 0B0504FA FF00AAF8
	v_mul_f32_dpp v131, v248, v131 quad_perm:[3,3,3,3] row_mask:0xf bank_mask:0xf// 000000008538: 0B0706FA FF00FFF8
	v_mul_f32_dpp v132, v249, v132 quad_perm:[0,0,0,0] row_mask:0xf bank_mask:0xf// 000000008540: 0B0908FA FF0000F9
	v_mul_f32_dpp v133, v249, v133 quad_perm:[1,1,1,1] row_mask:0xf bank_mask:0xf// 000000008548: 0B0B0AFA FF0055F9
	v_mul_f32_dpp v134, v249, v134 quad_perm:[2,2,2,2] row_mask:0xf bank_mask:0xf// 000000008550: 0B0D0CFA FF00AAF9
	v_mul_f32_dpp v135, v249, v135 quad_perm:[3,3,3,3] row_mask:0xf bank_mask:0xf// 000000008558: 0B0F0EFA FF00FFF9
	v_mul_f32_dpp v136, v250, v136 quad_perm:[0,0,0,0] row_mask:0xf bank_mask:0xf// 000000008560: 0B1110FA FF0000FA
	v_mul_f32_dpp v137, v250, v137 quad_perm:[1,1,1,1] row_mask:0xf bank_mask:0xf// 000000008568: 0B1312FA FF0055FA
	v_mul_f32_dpp v138, v250, v138 quad_perm:[2,2,2,2] row_mask:0xf bank_mask:0xf// 000000008570: 0B1514FA FF00AAFA
	v_mul_f32_dpp v139, v250, v139 quad_perm:[3,3,3,3] row_mask:0xf bank_mask:0xf// 000000008578: 0B1716FA FF00FFFA
	v_mul_f32_dpp v140, v251, v140 quad_perm:[0,0,0,0] row_mask:0xf bank_mask:0xf// 000000008580: 0B1918FA FF0000FB
	v_mul_f32_dpp v141, v251, v141 quad_perm:[1,1,1,1] row_mask:0xf bank_mask:0xf// 000000008588: 0B1B1AFA FF0055FB
	v_mul_f32_dpp v142, v251, v142 quad_perm:[2,2,2,2] row_mask:0xf bank_mask:0xf// 000000008590: 0B1D1CFA FF00AAFB
	v_mul_f32_dpp v143, v251, v143 quad_perm:[3,3,3,3] row_mask:0xf bank_mask:0xf// 000000008598: 0B1F1EFA FF00FFFB
	s_cmp_le_i32 s90, s89                                      // 0000000085A0: BF05595A
	s_cbranch_scc1 label_195B                                  // 0000000085A4: BF850071
	v_mov_b32_e32 v66, 0xff800000                              // 0000000085A8: 7E8402FF FF800000
	s_mov_b32 s60, s90                                         // 0000000085B0: BEBC005A
	s_add_u32 s61, s89, 0xff                                   // 0000000085B4: 803DFF59 000000FF
	v_mov_b32_e32 v64, s61                                     // 0000000085BC: 7E80023D
	v_lshrrev_b32_e32 v240, 4, v0                              // 0000000085C0: 21E00084
	v_mul_i32_i24_e32 v240, 4, v240                            // 0000000085C4: 0DE1E084
	v_add_u32_e32 v240, s60, v240                              // 0000000085C8: 69E1E03C
	s_mov_b32 s61, 1                                           // 0000000085CC: BEBD0081
	s_mul_i32 s60, 16, s7                                      // 0000000085D0: 923C0790
	v_sub_u32_e64 v240, v240, s61                              // 0000000085D4: D13500F0 00007BF0
	v_add_u32_e32 v240, s60, v240                              // 0000000085DC: 69E1E03C
	v_add_u32_e32 v241, 1, v240                                // 0000000085E0: 69E3E081
	v_add_u32_e32 v242, 2, v240                                // 0000000085E4: 69E5E082
	v_add_u32_e32 v243, 3, v240                                // 0000000085E8: 69E7E083
	v_cmp_le_u32_e64 s[40:41], v240, v64                       // 0000000085EC: D0CB0028 000281F0
	v_add_u32_e32 v240, 64, v240                               // 0000000085F4: 69E1E0C0
	s_nop 0                                                    // 0000000085F8: BF800000
	v_cndmask_b32_e64 v128, v66, v128, s[40:41]                // 0000000085FC: D1000080 00A30142
	v_cmp_le_u32_e64 s[40:41], v241, v64                       // 000000008604: D0CB0028 000281F1
	v_add_u32_e32 v241, 64, v241                               // 00000000860C: 69E3E2C0
	s_nop 0                                                    // 000000008610: BF800000
	v_cndmask_b32_e64 v129, v66, v129, s[40:41]                // 000000008614: D1000081 00A30342
	v_cmp_le_u32_e64 s[40:41], v242, v64                       // 00000000861C: D0CB0028 000281F2
	v_add_u32_e32 v242, 64, v242                               // 000000008624: 69E5E4C0
	s_nop 0                                                    // 000000008628: BF800000
	v_cndmask_b32_e64 v130, v66, v130, s[40:41]                // 00000000862C: D1000082 00A30542
	v_cmp_le_u32_e64 s[40:41], v243, v64                       // 000000008634: D0CB0028 000281F3
	v_add_u32_e32 v243, 64, v243                               // 00000000863C: 69E7E6C0
	s_nop 0                                                    // 000000008640: BF800000
	v_cndmask_b32_e64 v131, v66, v131, s[40:41]                // 000000008644: D1000083 00A30742
	v_cmp_le_u32_e64 s[40:41], v240, v64                       // 00000000864C: D0CB0028 000281F0
	v_add_u32_e32 v240, 64, v240                               // 000000008654: 69E1E0C0
	s_nop 0                                                    // 000000008658: BF800000
	v_cndmask_b32_e64 v132, v66, v132, s[40:41]                // 00000000865C: D1000084 00A30942
	v_cmp_le_u32_e64 s[40:41], v241, v64                       // 000000008664: D0CB0028 000281F1
	v_add_u32_e32 v241, 64, v241                               // 00000000866C: 69E3E2C0
	s_nop 0                                                    // 000000008670: BF800000
	v_cndmask_b32_e64 v133, v66, v133, s[40:41]                // 000000008674: D1000085 00A30B42
	v_cmp_le_u32_e64 s[40:41], v242, v64                       // 00000000867C: D0CB0028 000281F2
	v_add_u32_e32 v242, 64, v242                               // 000000008684: 69E5E4C0
	s_nop 0                                                    // 000000008688: BF800000
	v_cndmask_b32_e64 v134, v66, v134, s[40:41]                // 00000000868C: D1000086 00A30D42
	v_cmp_le_u32_e64 s[40:41], v243, v64                       // 000000008694: D0CB0028 000281F3
	v_add_u32_e32 v243, 64, v243                               // 00000000869C: 69E7E6C0
	s_nop 0                                                    // 0000000086A0: BF800000
	v_cndmask_b32_e64 v135, v66, v135, s[40:41]                // 0000000086A4: D1000087 00A30F42
	v_cmp_le_u32_e64 s[40:41], v240, v64                       // 0000000086AC: D0CB0028 000281F0
	v_add_u32_e32 v240, 64, v240                               // 0000000086B4: 69E1E0C0
	s_nop 0                                                    // 0000000086B8: BF800000
	v_cndmask_b32_e64 v136, v66, v136, s[40:41]                // 0000000086BC: D1000088 00A31142
	v_cmp_le_u32_e64 s[40:41], v241, v64                       // 0000000086C4: D0CB0028 000281F1
	v_add_u32_e32 v241, 64, v241                               // 0000000086CC: 69E3E2C0
	s_nop 0                                                    // 0000000086D0: BF800000
	v_cndmask_b32_e64 v137, v66, v137, s[40:41]                // 0000000086D4: D1000089 00A31342
	v_cmp_le_u32_e64 s[40:41], v242, v64                       // 0000000086DC: D0CB0028 000281F2
	v_add_u32_e32 v242, 64, v242                               // 0000000086E4: 69E5E4C0
	s_nop 0                                                    // 0000000086E8: BF800000
	v_cndmask_b32_e64 v138, v66, v138, s[40:41]                // 0000000086EC: D100008A 00A31542
	v_cmp_le_u32_e64 s[40:41], v243, v64                       // 0000000086F4: D0CB0028 000281F3
	v_add_u32_e32 v243, 64, v243                               // 0000000086FC: 69E7E6C0
	s_nop 0                                                    // 000000008700: BF800000
	v_cndmask_b32_e64 v139, v66, v139, s[40:41]                // 000000008704: D100008B 00A31742
	v_cmp_le_u32_e64 s[40:41], v240, v64                       // 00000000870C: D0CB0028 000281F0
	v_add_u32_e32 v240, 64, v240                               // 000000008714: 69E1E0C0
	s_nop 0                                                    // 000000008718: BF800000
	v_cndmask_b32_e64 v140, v66, v140, s[40:41]                // 00000000871C: D100008C 00A31942
	v_cmp_le_u32_e64 s[40:41], v241, v64                       // 000000008724: D0CB0028 000281F1
	v_add_u32_e32 v241, 64, v241                               // 00000000872C: 69E3E2C0
	s_nop 0                                                    // 000000008730: BF800000
	v_cndmask_b32_e64 v141, v66, v141, s[40:41]                // 000000008734: D100008D 00A31B42
	v_cmp_le_u32_e64 s[40:41], v242, v64                       // 00000000873C: D0CB0028 000281F2
	v_add_u32_e32 v242, 64, v242                               // 000000008744: 69E5E4C0
	s_nop 0                                                    // 000000008748: BF800000
	v_cndmask_b32_e64 v142, v66, v142, s[40:41]                // 00000000874C: D100008E 00A31D42
	v_cmp_le_u32_e64 s[40:41], v243, v64                       // 000000008754: D0CB0028 000281F3
	v_add_u32_e32 v243, 64, v243                               // 00000000875C: 69E7E6C0
	s_nop 0                                                    // 000000008760: BF800000
	v_cndmask_b32_e64 v143, v66, v143, s[40:41]                // 000000008764: D100008F 00A31F42

000000000000876c <label_195B>:
	s_add_u32 s90, s91, s90                                    // 00000000876C: 805A5A5B
	v_mov_b32_e32 v48, v128                                    // 000000008770: 7E600380
	v_max3_f32 v48, v128, v129, v48                            // 000000008774: D1D30030 04C30380
	v_max3_f32 v48, v130, v131, v48                            // 00000000877C: D1D30030 04C30782
	v_max3_f32 v48, v132, v133, v48                            // 000000008784: D1D30030 04C30B84
	v_max3_f32 v48, v134, v135, v48                            // 00000000878C: D1D30030 04C30F86
	v_max3_f32 v48, v136, v137, v48                            // 000000008794: D1D30030 04C31388
	v_max3_f32 v48, v138, v139, v48                            // 00000000879C: D1D30030 04C3178A
	v_max3_f32 v48, v140, v141, v48                            // 0000000087A4: D1D30030 04C31B8C
	v_max3_f32 v48, v142, v143, v48                            // 0000000087AC: D1D30030 04C31F8E
	ds_write_b32 v8, v48 offset:16896                          // 0000000087B4: D81A4200 00003008
	v_mul_f32_e32 v216, v50, v216                              // 0000000087BC: 0BB1B132
	v_mul_f32_e32 v217, v50, v217                              // 0000000087C0: 0BB3B332
	v_mul_f32_e32 v218, v50, v218                              // 0000000087C4: 0BB5B532
	v_mul_f32_e32 v219, v50, v219                              // 0000000087C8: 0BB7B732
	v_mul_f32_e32 v220, v50, v220                              // 0000000087CC: 0BB9B932
	v_mul_f32_e32 v221, v50, v221                              // 0000000087D0: 0BBBBB32
	v_mul_f32_e32 v222, v50, v222                              // 0000000087D4: 0BBDBD32
	v_mul_f32_e32 v223, v50, v223                              // 0000000087D8: 0BBFBF32
	s_waitcnt lgkmcnt(0)                                       // 0000000087DC: BF8CC07F
	s_barrier                                                  // 0000000087E0: BF8A0000
	ds_read_b32 v64, v7 offset:16896                           // 0000000087E4: D86C4200 40000007
	ds_read_b32 v65, v7 offset:16960                           // 0000000087EC: D86C4240 41000007
	ds_read_b32 v66, v7 offset:17024                           // 0000000087F4: D86C4280 42000007
	ds_read_b32 v67, v7 offset:17088                           // 0000000087FC: D86C42C0 43000007
	ds_read_b32 v68, v7 offset:17152                           // 000000008804: D86C4300 44000007
	ds_read_b32 v69, v7 offset:17216                           // 00000000880C: D86C4340 45000007
	ds_read_b32 v70, v7 offset:17280                           // 000000008814: D86C4380 46000007
	ds_read_b32 v71, v7 offset:17344                           // 00000000881C: D86C43C0 47000007
	ds_read_b32 v72, v7 offset:17408                           // 000000008824: D86C4400 48000007
	ds_read_b32 v73, v7 offset:17472                           // 00000000882C: D86C4440 49000007
	ds_read_b32 v74, v7 offset:17536                           // 000000008834: D86C4480 4A000007
	ds_read_b32 v75, v7 offset:17600                           // 00000000883C: D86C44C0 4B000007
	ds_read_b32 v76, v7 offset:17664                           // 000000008844: D86C4500 4C000007
	ds_read_b32 v77, v7 offset:17728                           // 00000000884C: D86C4540 4D000007
	ds_read_b32 v78, v7 offset:17792                           // 000000008854: D86C4580 4E000007
	ds_read_b32 v79, v7 offset:17856                           // 00000000885C: D86C45C0 4F000007
	v_mul_f32_e32 v184, v45, v184                              // 000000008864: 0B71712D
	v_mul_f32_e32 v185, v45, v185                              // 000000008868: 0B73732D
	v_mul_f32_e32 v186, v45, v186                              // 00000000886C: 0B75752D
	v_mul_f32_e32 v187, v45, v187                              // 000000008870: 0B77772D
	v_mul_f32_e32 v188, v45, v188                              // 000000008874: 0B79792D
	v_mul_f32_e32 v189, v45, v189                              // 000000008878: 0B7B7B2D
	v_mul_f32_e32 v190, v45, v190                              // 00000000887C: 0B7D7D2D
	v_mul_f32_e32 v191, v45, v191                              // 000000008880: 0B7F7F2D
	s_waitcnt lgkmcnt(0)                                       // 000000008884: BF8CC07F
	v_max3_f32 v48, v64, v65, v48                              // 000000008888: D1D30030 04C28340
	v_max3_f32 v48, v66, v67, v48                              // 000000008890: D1D30030 04C28742
	v_max3_f32 v48, v68, v69, v48                              // 000000008898: D1D30030 04C28B44
	v_max3_f32 v48, v70, v71, v48                              // 0000000088A0: D1D30030 04C28F46
	v_max3_f32 v48, v72, v73, v48                              // 0000000088A8: D1D30030 04C29348
	v_max3_f32 v48, v74, v75, v48                              // 0000000088B0: D1D30030 04C2974A
	v_max3_f32 v48, v76, v77, v48                              // 0000000088B8: D1D30030 04C29B4C
	v_max3_f32 v48, v78, v79, v48                              // 0000000088C0: D1D30030 04C29F4E
	v_mov_b32_e32 v64, 0xff800000                              // 0000000088C8: 7E8002FF FF800000
	v_cmp_eq_u32_e64 s[40:41], v64, v12                        // 0000000088D0: D0CA0028 00021940
	s_nop 1                                                    // 0000000088D8: BF800001
	v_max_f32_e32 v15, v48, v12                                // 0000000088DC: 161E1930
	v_mul_f32_e32 v53, s64, v15                                // 0000000088E0: 0A6A1E40
	v_fma_f32 v128, v128, s64, -v53                            // 0000000088E4: D1CB0080 84D48180
	v_fma_f32 v129, v129, s64, -v53                            // 0000000088EC: D1CB0081 84D48181
	v_fma_f32 v130, v130, s64, -v53                            // 0000000088F4: D1CB0082 84D48182
	v_fma_f32 v131, v131, s64, -v53                            // 0000000088FC: D1CB0083 84D48183
	v_fma_f32 v132, v132, s64, -v53                            // 000000008904: D1CB0084 84D48184
	v_fma_f32 v133, v133, s64, -v53                            // 00000000890C: D1CB0085 84D48185
	v_fma_f32 v134, v134, s64, -v53                            // 000000008914: D1CB0086 84D48186
	v_fma_f32 v135, v135, s64, -v53                            // 00000000891C: D1CB0087 84D48187
	v_fma_f32 v136, v136, s64, -v53                            // 000000008924: D1CB0088 84D48188
	v_fma_f32 v137, v137, s64, -v53                            // 00000000892C: D1CB0089 84D48189
	v_fma_f32 v138, v138, s64, -v53                            // 000000008934: D1CB008A 84D4818A
	v_fma_f32 v139, v139, s64, -v53                            // 00000000893C: D1CB008B 84D4818B
	v_fma_f32 v140, v140, s64, -v53                            // 000000008944: D1CB008C 84D4818C
	v_fma_f32 v141, v141, s64, -v53                            // 00000000894C: D1CB008D 84D4818D
	v_fma_f32 v142, v142, s64, -v53                            // 000000008954: D1CB008E 84D4818E
	v_fma_f32 v143, v143, s64, -v53                            // 00000000895C: D1CB008F 84D4818F
	v_exp_f32_e32 v128, v128                                   // 000000008964: 7F004180
	v_exp_f32_e32 v129, v129                                   // 000000008968: 7F024181
	v_exp_f32_e32 v130, v130                                   // 00000000896C: 7F044182
	v_exp_f32_e32 v131, v131                                   // 000000008970: 7F064183
	v_exp_f32_e32 v132, v132                                   // 000000008974: 7F084184
	v_exp_f32_e32 v133, v133                                   // 000000008978: 7F0A4185
	v_exp_f32_e32 v134, v134                                   // 00000000897C: 7F0C4186
	v_exp_f32_e32 v135, v135                                   // 000000008980: 7F0E4187
	v_exp_f32_e32 v136, v136                                   // 000000008984: 7F104188
	v_exp_f32_e32 v137, v137                                   // 000000008988: 7F124189
	v_exp_f32_e32 v138, v138                                   // 00000000898C: 7F14418A
	v_exp_f32_e32 v139, v139                                   // 000000008990: 7F16418B
	v_exp_f32_e32 v140, v140                                   // 000000008994: 7F18418C
	v_exp_f32_e32 v141, v141                                   // 000000008998: 7F1A418D
	v_exp_f32_e32 v142, v142                                   // 00000000899C: 7F1C418E
	v_exp_f32_e32 v143, v143                                   // 0000000089A0: 7F1E418F
	v_mul_f32_dpp v240, v252, v128 quad_perm:[0,0,0,0] row_mask:0xf bank_mask:0xf// 0000000089A4: 0BE100FA FF0000FC
	v_mul_f32_dpp v241, v252, v129 quad_perm:[1,1,1,1] row_mask:0xf bank_mask:0xf// 0000000089AC: 0BE302FA FF0055FC
	v_mul_f32_dpp v242, v252, v130 quad_perm:[2,2,2,2] row_mask:0xf bank_mask:0xf// 0000000089B4: 0BE504FA FF00AAFC
	v_mul_f32_dpp v243, v252, v131 quad_perm:[3,3,3,3] row_mask:0xf bank_mask:0xf// 0000000089BC: 0BE706FA FF00FFFC
	v_mul_f32_dpp v244, v253, v132 quad_perm:[0,0,0,0] row_mask:0xf bank_mask:0xf// 0000000089C4: 0BE908FA FF0000FD
	v_mul_f32_dpp v245, v253, v133 quad_perm:[1,1,1,1] row_mask:0xf bank_mask:0xf// 0000000089CC: 0BEB0AFA FF0055FD
	v_mul_f32_dpp v246, v253, v134 quad_perm:[2,2,2,2] row_mask:0xf bank_mask:0xf// 0000000089D4: 0BED0CFA FF00AAFD
	v_mul_f32_dpp v247, v253, v135 quad_perm:[3,3,3,3] row_mask:0xf bank_mask:0xf// 0000000089DC: 0BEF0EFA FF00FFFD
	v_mul_f32_dpp v248, v254, v136 quad_perm:[0,0,0,0] row_mask:0xf bank_mask:0xf// 0000000089E4: 0BF110FA FF0000FE
	v_mul_f32_dpp v249, v254, v137 quad_perm:[1,1,1,1] row_mask:0xf bank_mask:0xf// 0000000089EC: 0BF312FA FF0055FE
	v_mul_f32_dpp v250, v254, v138 quad_perm:[2,2,2,2] row_mask:0xf bank_mask:0xf// 0000000089F4: 0BF514FA FF00AAFE
	v_mul_f32_dpp v251, v254, v139 quad_perm:[3,3,3,3] row_mask:0xf bank_mask:0xf// 0000000089FC: 0BF716FA FF00FFFE
	v_mul_f32_dpp v252, v255, v140 quad_perm:[0,0,0,0] row_mask:0xf bank_mask:0xf// 000000008A04: 0BF918FA FF0000FF
	v_mul_f32_dpp v253, v255, v141 quad_perm:[1,1,1,1] row_mask:0xf bank_mask:0xf// 000000008A0C: 0BFB1AFA FF0055FF
	v_mul_f32_dpp v254, v255, v142 quad_perm:[2,2,2,2] row_mask:0xf bank_mask:0xf// 000000008A14: 0BFD1CFA FF00AAFF
	v_mul_f32_dpp v255, v255, v143 quad_perm:[3,3,3,3] row_mask:0xf bank_mask:0xf// 000000008A1C: 0BFF1EFA FF00FFFF
	v_mov_b32_e32 v48, 0x358637bd                              // 000000008A24: 7E6002FF 358637BD
	v_max3_f32 v48, |v240|, |v241|, v48                        // 000000008A2C: D1D30330 04C3E3F0
	v_max3_f32 v48, |v242|, |v243|, v48                        // 000000008A34: D1D30330 04C3E7F2
	v_max3_f32 v48, |v244|, |v245|, v48                        // 000000008A3C: D1D30330 04C3EBF4
	v_max3_f32 v48, |v246|, |v247|, v48                        // 000000008A44: D1D30330 04C3EFF6
	v_max3_f32 v48, |v248|, |v249|, v48                        // 000000008A4C: D1D30330 04C3F3F8
	v_max3_f32 v48, |v250|, |v251|, v48                        // 000000008A54: D1D30330 04C3F7FA
	v_max3_f32 v48, |v252|, |v253|, v48                        // 000000008A5C: D1D30330 04C3FBFC
	v_max3_f32 v48, |v254|, |v255|, v48                        // 000000008A64: D1D30330 04C3FFFE
	ds_write_b32 v8, v48 offset:20992                          // 000000008A6C: D81A5200 00003008
	v_sub_f32_e32 v50, v12, v15                                // 000000008A74: 04641F0C
	v_cndmask_b32_e64 v50, v50, 0, s[40:41]                    // 000000008A78: D1000032 00A10132
	v_mov_b32_e32 v12, v15                                     // 000000008A80: 7E18030F
	v_mul_f32_e32 v50, s64, v50                                // 000000008A84: 0A646440
	v_exp_f32_e32 v50, v50                                     // 000000008A88: 7E644132
	s_waitcnt lgkmcnt(0)                                       // 000000008A8C: BF8CC07F
	s_barrier                                                  // 000000008A90: BF8A0000
	ds_read_b32 v64, v7 offset:20992                           // 000000008A94: D86C5200 40000007
	ds_read_b32 v65, v7 offset:21056                           // 000000008A9C: D86C5240 41000007
	ds_read_b32 v66, v7 offset:21120                           // 000000008AA4: D86C5280 42000007
	ds_read_b32 v67, v7 offset:21184                           // 000000008AAC: D86C52C0 43000007
	ds_read_b32 v68, v7 offset:21248                           // 000000008AB4: D86C5300 44000007
	ds_read_b32 v69, v7 offset:21312                           // 000000008ABC: D86C5340 45000007
	ds_read_b32 v70, v7 offset:21376                           // 000000008AC4: D86C5380 46000007
	ds_read_b32 v71, v7 offset:21440                           // 000000008ACC: D86C53C0 47000007
	ds_read_b32 v72, v7 offset:21504                           // 000000008AD4: D86C5400 48000007
	ds_read_b32 v73, v7 offset:21568                           // 000000008ADC: D86C5440 49000007
	ds_read_b32 v74, v7 offset:21632                           // 000000008AE4: D86C5480 4A000007
	ds_read_b32 v75, v7 offset:21696                           // 000000008AEC: D86C54C0 4B000007
	ds_read_b32 v76, v7 offset:21760                           // 000000008AF4: D86C5500 4C000007
	ds_read_b32 v77, v7 offset:21824                           // 000000008AFC: D86C5540 4D000007
	ds_read_b32 v78, v7 offset:21888                           // 000000008B04: D86C5580 4E000007
	ds_read_b32 v79, v7 offset:21952                           // 000000008B0C: D86C55C0 4F000007
	v_mul_f32_e32 v39, v50, v39                                // 000000008B14: 0A4E4F32
	v_mov_b32_e32 v15, v128                                    // 000000008B18: 7E1E0380
	v_add_f32_e32 v15, v129, v15                               // 000000008B1C: 021E1F81
	v_add_f32_e32 v15, v130, v15                               // 000000008B20: 021E1F82
	v_add_f32_e32 v15, v131, v15                               // 000000008B24: 021E1F83
	v_add_f32_e32 v15, v132, v15                               // 000000008B28: 021E1F84
	v_add_f32_e32 v15, v133, v15                               // 000000008B2C: 021E1F85
	v_add_f32_e32 v15, v134, v15                               // 000000008B30: 021E1F86
	v_add_f32_e32 v15, v135, v15                               // 000000008B34: 021E1F87
	v_add_f32_e32 v15, v136, v15                               // 000000008B38: 021E1F88
	v_add_f32_e32 v15, v137, v15                               // 000000008B3C: 021E1F89
	v_add_f32_e32 v15, v138, v15                               // 000000008B40: 021E1F8A
	v_add_f32_e32 v15, v139, v15                               // 000000008B44: 021E1F8B
	v_add_f32_e32 v15, v140, v15                               // 000000008B48: 021E1F8C
	v_add_f32_e32 v15, v141, v15                               // 000000008B4C: 021E1F8D
	v_add_f32_e32 v15, v142, v15                               // 000000008B50: 021E1F8E
	v_add_f32_e32 v15, v143, v15                               // 000000008B54: 021E1F8F
	v_add_f32_e32 v39, v15, v39                                // 000000008B58: 024E4F0F
	s_waitcnt lgkmcnt(0)                                       // 000000008B5C: BF8CC07F
	v_max3_f32 v48, |v64|, |v65|, v48                          // 000000008B60: D1D30330 04C28340
	v_max3_f32 v48, |v66|, |v67|, v48                          // 000000008B68: D1D30330 04C28742
	v_max3_f32 v48, |v68|, |v69|, v48                          // 000000008B70: D1D30330 04C28B44
	v_max3_f32 v48, |v70|, |v71|, v48                          // 000000008B78: D1D30330 04C28F46
	v_max3_f32 v48, |v72|, |v73|, v48                          // 000000008B80: D1D30330 04C29348
	v_max3_f32 v48, |v74|, |v75|, v48                          // 000000008B88: D1D30330 04C2974A
	v_max3_f32 v48, |v76|, |v77|, v48                          // 000000008B90: D1D30330 04C29B4C
	v_max3_f32 v48, |v78|, |v79|, v48                          // 000000008B98: D1D30330 04C29F4E
	s_nop 2                                                    // 000000008BA0: BF800002
	v_rcp_f32_e32 v48, v48                                     // 000000008BA4: 7E604530
	s_nop 1                                                    // 000000008BA8: BF800001
	v_mul_f32_e32 v48, 0x43e00000, v48                         // 000000008BAC: 0A6060FF 43E00000
	v_mul_f32_e32 v128, v48, v240                              // 000000008BB4: 0B01E130
	v_mul_f32_e32 v129, v48, v241                              // 000000008BB8: 0B03E330
	v_mul_f32_e32 v130, v48, v242                              // 000000008BBC: 0B05E530
	v_mul_f32_e32 v131, v48, v243                              // 000000008BC0: 0B07E730
	v_mul_f32_e32 v132, v48, v244                              // 000000008BC4: 0B09E930
	v_mul_f32_e32 v133, v48, v245                              // 000000008BC8: 0B0BEB30
	v_mul_f32_e32 v134, v48, v246                              // 000000008BCC: 0B0DED30
	v_mul_f32_e32 v135, v48, v247                              // 000000008BD0: 0B0FEF30
	v_mul_f32_e32 v136, v48, v248                              // 000000008BD4: 0B11F130
	v_mul_f32_e32 v137, v48, v249                              // 000000008BD8: 0B13F330
	v_mul_f32_e32 v138, v48, v250                              // 000000008BDC: 0B15F530
	v_mul_f32_e32 v139, v48, v251                              // 000000008BE0: 0B17F730
	v_mul_f32_e32 v140, v48, v252                              // 000000008BE4: 0B19F930
	v_mul_f32_e32 v141, v48, v253                              // 000000008BE8: 0B1BFB30
	v_mul_f32_e32 v142, v48, v254                              // 000000008BEC: 0B1DFD30
	v_mul_f32_e32 v143, v48, v255                              // 000000008BF0: 0B1FFF30
	v_cvt_pk_fp8_f32 v128, v128, v129                          // 000000008BF4: D2A20080 00030380
	v_cvt_pk_fp8_f32 v128, v130, v131 op_sel:[0,0,1]           // 000000008BFC: D2A24080 00030782
	v_cvt_pk_fp8_f32 v129, v132, v133                          // 000000008C04: D2A20081 00030B84
	v_cvt_pk_fp8_f32 v129, v134, v135 op_sel:[0,0,1]           // 000000008C0C: D2A24081 00030F86
	v_cvt_pk_fp8_f32 v130, v136, v137                          // 000000008C14: D2A20082 00031388
	v_cvt_pk_fp8_f32 v130, v138, v139 op_sel:[0,0,1]           // 000000008C1C: D2A24082 0003178A
	v_cvt_pk_fp8_f32 v131, v140, v141                          // 000000008C24: D2A20083 00031B8C
	v_cvt_pk_fp8_f32 v131, v142, v143 op_sel:[0,0,1]           // 000000008C2C: D2A24083 00031F8E
	ds_write_b32 v10, v128 offset:29184                        // 000000008C34: D81A7200 0000800A
	ds_write_b32 v10, v129 offset:30208                        // 000000008C3C: D81A7600 0000810A
	ds_write_b32 v10, v130 offset:31232                        // 000000008C44: D81A7A00 0000820A
	ds_write_b32 v10, v131 offset:32256                        // 000000008C4C: D81A7E00 0000830A
	v_add_f32_e32 v216, v216, v184                             // 000000008C54: 03B171D8
	v_add_f32_e32 v217, v217, v185                             // 000000008C58: 03B373D9
	v_add_f32_e32 v218, v218, v186                             // 000000008C5C: 03B575DA
	v_add_f32_e32 v219, v219, v187                             // 000000008C60: 03B777DB
	v_add_f32_e32 v220, v220, v188                             // 000000008C64: 03B979DC
	v_add_f32_e32 v221, v221, v189                             // 000000008C68: 03BB7BDD
	v_add_f32_e32 v222, v222, v190                             // 000000008C6C: 03BD7DDE
	v_add_f32_e32 v223, v223, v191                             // 000000008C70: 03BF7FDF
	v_rcp_f32_e32 v45, v48                                     // 000000008C74: 7E5A4530
	s_waitcnt lgkmcnt(0)                                       // 000000008C78: BF8CC07F
	s_barrier                                                  // 000000008C7C: BF8A0000
	ds_read_b64 v[128:129], v9 offset:29184                    // 000000008C80: D8EC7200 80000009
	ds_read_b64 v[130:131], v9 offset:29312                    // 000000008C88: D8EC7280 82000009
	ds_read_b64 v[132:133], v9 offset:30208                    // 000000008C90: D8EC7600 84000009
	ds_read_b64 v[134:135], v9 offset:30336                    // 000000008C98: D8EC7680 86000009
	ds_read_b64 v[136:137], v9 offset:31232                    // 000000008CA0: D8EC7A00 88000009
	ds_read_b64 v[138:139], v9 offset:31360                    // 000000008CA8: D8EC7A80 8A000009
	ds_read_b64 v[140:141], v9 offset:32256                    // 000000008CB0: D8EC7E00 8C000009
	ds_read_b64 v[142:143], v9 offset:32384                    // 000000008CB8: D8EC7E80 8E000009
	s_waitcnt vmcnt(15)                                        // 000000008CC0: BF8C0F7F
	v_mfma_f32_16x16x32_fp8_fp8 v[176:179], a[64:65], v[112:113], 0// 000000008CC4: D3F300B0 0A02E140
	v_mfma_f32_16x16x32_fp8_fp8 v[176:179], a[66:67], v[114:115], v[176:179]// 000000008CCC: D3F300B0 0EC2E542
	buffer_load_dwordx4 a[112:115], v34, s[20:23], 0 offen offset:1024// 000000008CD4: E05C1400 80857022
	v_mfma_f32_16x16x32_fp8_fp8 v[176:179], a[68:69], v[116:117], v[176:179]// 000000008CDC: D3F300B0 0EC2E944
	v_mfma_f32_16x16x32_fp8_fp8 v[176:179], a[70:71], v[118:119], v[176:179]// 000000008CE4: D3F300B0 0EC2ED46
	v_mfma_f32_16x16x32_fp8_fp8 v[176:179], a[72:73], v[120:121], v[176:179]// 000000008CEC: D3F300B0 0EC2F148
	v_mfma_f32_16x16x32_fp8_fp8 v[176:179], a[74:75], v[122:123], v[176:179]// 000000008CF4: D3F300B0 0EC2F54A
	buffer_load_dwordx4 a[116:119], v35, s[20:23], 0 offen offset:1024// 000000008CFC: E05C1400 80857423
	v_mfma_f32_16x16x32_fp8_fp8 v[176:179], a[76:77], v[124:125], v[176:179]// 000000008D04: D3F300B0 0EC2F94C
	v_mfma_f32_16x16x32_fp8_fp8 v[176:179], a[78:79], v[126:127], v[176:179]// 000000008D0C: D3F300B0 0EC2FD4E
	v_mfma_f32_16x16x32_fp8_fp8 v[180:183], a[80:81], v[112:113], 0// 000000008D14: D3F300B4 0A02E150
	v_mfma_f32_16x16x32_fp8_fp8 v[180:183], a[82:83], v[114:115], v[180:183]// 000000008D1C: D3F300B4 0ED2E552
	buffer_load_dwordx4 a[120:123], v36, s[20:23], 0 offen offset:1024// 000000008D24: E05C1400 80857824
	v_mfma_f32_16x16x32_fp8_fp8 v[180:183], a[84:85], v[116:117], v[180:183]// 000000008D2C: D3F300B4 0ED2E954
	v_mfma_f32_16x16x32_fp8_fp8 v[180:183], a[86:87], v[118:119], v[180:183]// 000000008D34: D3F300B4 0ED2ED56
	v_mfma_f32_16x16x32_fp8_fp8 v[180:183], a[88:89], v[120:121], v[180:183]// 000000008D3C: D3F300B4 0ED2F158
	v_mfma_f32_16x16x32_fp8_fp8 v[180:183], a[90:91], v[122:123], v[180:183]// 000000008D44: D3F300B4 0ED2F55A
	buffer_load_dwordx4 a[124:127], v37, s[20:23], 0 offen offset:1024// 000000008D4C: E05C1400 80857C25
	v_mfma_f32_16x16x32_fp8_fp8 v[180:183], a[92:93], v[124:125], v[180:183]// 000000008D54: D3F300B4 0ED2F95C
	s_lshr_b32 s57, s70, 4                                     // 000000008D5C: 8F398446
	s_add_u32 s57, 48, s57                                     // 000000008D60: 803939B0
	v_mfma_f32_16x16x32_fp8_fp8 v[180:183], a[94:95], v[126:127], v[180:183]// 000000008D64: D3F300B4 0ED2FD5E
	s_cmp_ge_u32 s57, s73                                      // 000000008D6C: BF094939
	s_cselect_b32 s56, 0, s56                                  // 000000008D70: 85383880
	v_mfma_f32_16x16x32_fp8_fp8 v[184:187], a[64:65], v[128:129], 0// 000000008D74: D3F300B8 0A030140
	v_mfma_f32_16x16x32_fp8_fp8 v[184:187], a[66:67], v[130:131], v[184:187]// 000000008D7C: D3F300B8 0EE30542
	v_mfma_f32_16x16x32_fp8_fp8 v[184:187], a[68:69], v[132:133], v[184:187]// 000000008D84: D3F300B8 0EE30944
	v_mfma_f32_16x16x32_fp8_fp8 v[184:187], a[70:71], v[134:135], v[184:187]// 000000008D8C: D3F300B8 0EE30D46
	v_mfma_f32_16x16x32_fp8_fp8 v[184:187], a[72:73], v[136:137], v[184:187]// 000000008D94: D3F300B8 0EE31148
	v_mfma_f32_16x16x32_fp8_fp8 v[184:187], a[74:75], v[138:139], v[184:187]// 000000008D9C: D3F300B8 0EE3154A
	v_mfma_f32_16x16x32_fp8_fp8 v[184:187], a[76:77], v[140:141], v[184:187]// 000000008DA4: D3F300B8 0EE3194C
	v_mfma_f32_16x16x32_fp8_fp8 v[184:187], a[78:79], v[142:143], v[184:187]// 000000008DAC: D3F300B8 0EE31D4E
	v_mfma_f32_16x16x32_fp8_fp8 v[188:191], a[80:81], v[128:129], 0// 000000008DB4: D3F300BC 0A030150
	v_mfma_f32_16x16x32_fp8_fp8 v[188:191], a[82:83], v[130:131], v[188:191]// 000000008DBC: D3F300BC 0EF30552
	v_mfma_f32_16x16x32_fp8_fp8 v[188:191], a[84:85], v[132:133], v[188:191]// 000000008DC4: D3F300BC 0EF30954
	v_mfma_f32_16x16x32_fp8_fp8 v[188:191], a[86:87], v[134:135], v[188:191]// 000000008DCC: D3F300BC 0EF30D56
	v_mfma_f32_16x16x32_fp8_fp8 v[188:191], a[88:89], v[136:137], v[188:191]// 000000008DD4: D3F300BC 0EF31158
	v_mfma_f32_16x16x32_fp8_fp8 v[188:191], a[90:91], v[138:139], v[188:191]// 000000008DDC: D3F300BC 0EF3155A
	v_mfma_f32_16x16x32_fp8_fp8 v[188:191], a[92:93], v[140:141], v[188:191]// 000000008DE4: D3F300BC 0EF3195C
	v_mfma_f32_16x16x32_fp8_fp8 v[188:191], a[94:95], v[142:143], v[188:191]// 000000008DEC: D3F300BC 0EF31D5E
	v_add_u32_e32 v1, s56, v1                                  // 000000008DF4: 68020238
	s_addk_i32 s70, 0x100                                      // 000000008DF8: B7460100
	s_cmp_lt_i32 s70, s71                                      // 000000008DFC: BF044746
	s_cbranch_scc0 label_2027                                  // 000000008E00: BF840526
	s_waitcnt vmcnt(8) lgkmcnt(0)                              // 000000008E04: BF8C0078
	v_mul_u32_u24_dpp v64, v16, v54 row_newbcast:0 row_mask:0xf bank_mask:0xf// 000000008E08: 10806CFA FF015010
	v_mul_u32_u24_dpp v65, v16, v54 row_newbcast:4 row_mask:0xf bank_mask:0xf// 000000008E10: 10826CFA FF015410
	v_mul_u32_u24_dpp v66, v16, v54 row_newbcast:8 row_mask:0xf bank_mask:0xf// 000000008E18: 10846CFA FF015810
	v_mul_u32_u24_dpp v67, v16, v54 row_newbcast:12 row_mask:0xf bank_mask:0xf// 000000008E20: 10866CFA FF015C10
	v_add_u32_e32 v22, v64, v5                                 // 000000008E28: 682C0B40
	v_add_u32_e32 v23, v65, v5                                 // 000000008E2C: 682E0B41
	v_add_u32_e32 v24, v66, v5                                 // 000000008E30: 68300B42
	v_add_u32_e32 v25, v67, v5                                 // 000000008E34: 68320B43
	v_mul_u32_u24_dpp v64, v16, v63 quad_perm:[0,0,0,0] row_mask:0xf bank_mask:0xf// 000000008E38: 10807EFA FF000010
	v_add_u32_e32 v2, v64, v59                                 // 000000008E40: 68047740
	v_mul_u32_u24_dpp v64, v16, v63 quad_perm:[0,0,0,0] row_mask:0xf bank_mask:0xf// 000000008E44: 10807EFA FF000010
	v_add_u32_e32 v55, v64, v60                                // 000000008E4C: 686E7940
	v_mfma_f32_16x16x32_fp8_fp8 v[112:115], a[32:33], v[80:81], 0// 000000008E50: D3F30070 0A02A120
	v_mfma_f32_16x16x32_fp8_fp8 v[112:115], a[34:35], v[82:83], v[112:115]// 000000008E58: D3F30070 0DC2A522
	buffer_load_dwordx4 a[0:3], v22, s[16:19], 0 offen         // 000000008E60: E05C1000 80840016
	v_mfma_f32_16x16x32_fp8_fp8 v[112:115], a[36:37], v[84:85], v[112:115]// 000000008E68: D3F30070 0DC2A924
	v_mfma_f32_16x16x32_fp8_fp8 v[112:115], a[38:39], v[86:87], v[112:115]// 000000008E70: D3F30070 0DC2AD26
	buffer_load_dword v17, v1, s[24:27], 0 offen               // 000000008E78: E0501000 80061101
	v_mfma_f32_16x16x32_fp8_fp8 v[116:119], a[40:41], v[80:81], 0// 000000008E80: D3F30074 0A02A128
	v_mfma_f32_16x16x32_fp8_fp8 v[116:119], a[42:43], v[82:83], v[116:119]// 000000008E88: D3F30074 0DD2A52A
	buffer_load_dwordx4 a[4:7], v22, s[16:19], 0 offen offset:1024// 000000008E90: E05C1400 80840416
	v_mfma_f32_16x16x32_fp8_fp8 v[116:119], a[44:45], v[84:85], v[116:119]// 000000008E98: D3F30074 0DD2A92C
	v_mfma_f32_16x16x32_fp8_fp8 v[116:119], a[46:47], v[86:87], v[116:119]// 000000008EA0: D3F30074 0DD2AD2E
	v_mfma_f32_16x16x32_fp8_fp8 v[120:123], a[48:49], v[80:81], 0// 000000008EA8: D3F30078 0A02A130
	v_mfma_f32_16x16x32_fp8_fp8 v[120:123], a[50:51], v[82:83], v[120:123]// 000000008EB0: D3F30078 0DE2A532
	buffer_load_dwordx4 a[8:11], v23, s[16:19], 0 offen        // 000000008EB8: E05C1000 80840817
	v_mfma_f32_16x16x32_fp8_fp8 v[120:123], a[52:53], v[84:85], v[120:123]// 000000008EC0: D3F30078 0DE2A934
	v_mfma_f32_16x16x32_fp8_fp8 v[120:123], a[54:55], v[86:87], v[120:123]// 000000008EC8: D3F30078 0DE2AD36
	v_mfma_f32_16x16x32_fp8_fp8 v[124:127], a[56:57], v[80:81], 0// 000000008ED0: D3F3007C 0A02A138
	v_mfma_f32_16x16x32_fp8_fp8 v[124:127], a[58:59], v[82:83], v[124:127]// 000000008ED8: D3F3007C 0DF2A53A
	buffer_load_dwordx4 a[12:15], v23, s[16:19], 0 offen offset:1024// 000000008EE0: E05C1400 80840C17
	v_mfma_f32_16x16x32_fp8_fp8 v[124:127], a[60:61], v[84:85], v[124:127]// 000000008EE8: D3F3007C 0DF2A93C
	v_mfma_f32_16x16x32_fp8_fp8 v[124:127], a[62:63], v[86:87], v[124:127]// 000000008EF0: D3F3007C 0DF2AD3E
	v_mfma_f32_16x16x32_fp8_fp8 v[128:131], a[32:33], v[88:89], 0// 000000008EF8: D3F30080 0A02B120
	v_mfma_f32_16x16x32_fp8_fp8 v[128:131], a[34:35], v[90:91], v[128:131]// 000000008F00: D3F30080 0E02B522
	v_mfma_f32_16x16x32_fp8_fp8 v[128:131], a[36:37], v[92:93], v[128:131]// 000000008F08: D3F30080 0E02B924
	v_mfma_f32_16x16x32_fp8_fp8 v[128:131], a[38:39], v[94:95], v[128:131]// 000000008F10: D3F30080 0E02BD26
	v_mfma_f32_16x16x32_fp8_fp8 v[132:135], a[40:41], v[88:89], 0// 000000008F18: D3F30084 0A02B128
	v_mfma_f32_16x16x32_fp8_fp8 v[132:135], a[42:43], v[90:91], v[132:135]// 000000008F20: D3F30084 0E12B52A
	v_mfma_f32_16x16x32_fp8_fp8 v[132:135], a[44:45], v[92:93], v[132:135]// 000000008F28: D3F30084 0E12B92C
	v_mfma_f32_16x16x32_fp8_fp8 v[132:135], a[46:47], v[94:95], v[132:135]// 000000008F30: D3F30084 0E12BD2E
	v_mfma_f32_16x16x32_fp8_fp8 v[136:139], a[48:49], v[88:89], 0// 000000008F38: D3F30088 0A02B130
	v_mfma_f32_16x16x32_fp8_fp8 v[136:139], a[50:51], v[90:91], v[136:139]// 000000008F40: D3F30088 0E22B532
	v_mfma_f32_16x16x32_fp8_fp8 v[136:139], a[52:53], v[92:93], v[136:139]// 000000008F48: D3F30088 0E22B934
	v_mfma_f32_16x16x32_fp8_fp8 v[136:139], a[54:55], v[94:95], v[136:139]// 000000008F50: D3F30088 0E22BD36
	v_mfma_f32_16x16x32_fp8_fp8 v[140:143], a[56:57], v[88:89], 0// 000000008F58: D3F3008C 0A02B138
	v_mfma_f32_16x16x32_fp8_fp8 v[140:143], a[58:59], v[90:91], v[140:143]// 000000008F60: D3F3008C 0E32B53A
	v_mfma_f32_16x16x32_fp8_fp8 v[140:143], a[60:61], v[92:93], v[140:143]// 000000008F68: D3F3008C 0E32B93C
	v_mfma_f32_16x16x32_fp8_fp8 v[140:143], a[62:63], v[94:95], v[140:143]// 000000008F70: D3F3008C 0E32BD3E
	buffer_load_dword v42, v2, s[32:35], 0 offen               // 000000008F78: E0501000 80082A02
	v_mov_b32_dpp v64, v43 row_shr:4 row_mask:0xf bank_mask:0xf// 000000008F80: 7E8002FA FF01142B
	v_mov_b32_dpp v65, v43 row_shl:4 row_mask:0xf bank_mask:0xf// 000000008F88: 7E8202FA FF01042B
	v_cndmask_b32_e64 v248, v43, v64, s[44:45]                 // 000000008F90: D10000F8 00B2812B
	v_cndmask_b32_e64 v249, v65, v43, s[44:45]                 // 000000008F98: D10000F9 00B25741
	v_mov_b32_dpp v64, v248 row_shr:8 row_mask:0xf bank_mask:0xf// 000000008FA0: 7E8002FA FF0118F8
	v_mov_b32_dpp v65, v248 row_shl:8 row_mask:0xf bank_mask:0xf// 000000008FA8: 7E8202FA FF0108F8
	v_mov_b32_dpp v66, v249 row_shr:8 row_mask:0xf bank_mask:0xf// 000000008FB0: 7E8402FA FF0118F9
	v_mov_b32_dpp v67, v249 row_shl:8 row_mask:0xf bank_mask:0xf// 000000008FB8: 7E8602FA FF0108F9
	v_mov_b32_e32 v68, v248                                    // 000000008FC0: 7E8803F8
	v_mov_b32_e32 v69, v249                                    // 000000008FC4: 7E8A03F9
	v_cndmask_b32_e64 v248, v68, v64, s[42:43]                 // 000000008FC8: D10000F8 00AA8144
	v_cndmask_b32_e64 v250, v68, v65, s[78:79]                 // 000000008FD0: D10000FA 013A8344
	v_cndmask_b32_e64 v249, v69, v66, s[42:43]                 // 000000008FD8: D10000F9 00AA8545
	v_cndmask_b32_e64 v251, v69, v67, s[78:79]                 // 000000008FE0: D10000FB 013A8745
	v_mov_b32_dpp v64, v58 row_shr:4 row_mask:0xf bank_mask:0xf// 000000008FE8: 7E8002FA FF01143A
	v_mov_b32_dpp v65, v58 row_shl:4 row_mask:0xf bank_mask:0xf// 000000008FF0: 7E8202FA FF01043A
	v_cndmask_b32_e64 v252, v58, v64, s[44:45]                 // 000000008FF8: D10000FC 00B2813A
	v_cndmask_b32_e64 v253, v65, v58, s[44:45]                 // 000000009000: D10000FD 00B27541
	v_mov_b32_dpp v64, v252 row_shr:8 row_mask:0xf bank_mask:0xf// 000000009008: 7E8002FA FF0118FC
	v_mov_b32_dpp v65, v252 row_shl:8 row_mask:0xf bank_mask:0xf// 000000009010: 7E8202FA FF0108FC
	v_mov_b32_dpp v66, v253 row_shr:8 row_mask:0xf bank_mask:0xf// 000000009018: 7E8402FA FF0118FD
	v_mov_b32_dpp v67, v253 row_shl:8 row_mask:0xf bank_mask:0xf// 000000009020: 7E8602FA FF0108FD
	v_mov_b32_e32 v68, v252                                    // 000000009028: 7E8803FC
	v_mov_b32_e32 v69, v253                                    // 00000000902C: 7E8A03FD
	v_cndmask_b32_e64 v252, v68, v64, s[42:43]                 // 000000009030: D10000FC 00AA8144
	v_cndmask_b32_e64 v254, v68, v65, s[78:79]                 // 000000009038: D10000FE 013A8344
	v_cndmask_b32_e64 v253, v69, v66, s[42:43]                 // 000000009040: D10000FD 00AA8545
	v_cndmask_b32_e64 v255, v69, v67, s[78:79]                 // 000000009048: D10000FF 013A8745
	buffer_load_dword v57, v55, s[36:39], 0 offen              // 000000009050: E0501000 80093937
	v_mul_f32_e32 v112, v18, v112                              // 000000009058: 0AE0E112
	v_mul_f32_e32 v113, v18, v113                              // 00000000905C: 0AE2E312
	v_mul_f32_e32 v114, v18, v114                              // 000000009060: 0AE4E512
	v_mul_f32_e32 v115, v18, v115                              // 000000009064: 0AE6E712
	v_mul_f32_e32 v116, v18, v116                              // 000000009068: 0AE8E912
	v_mul_f32_e32 v117, v18, v117                              // 00000000906C: 0AEAEB12
	v_mul_f32_e32 v118, v18, v118                              // 000000009070: 0AECED12
	v_mul_f32_e32 v119, v18, v119                              // 000000009074: 0AEEEF12
	v_mul_f32_e32 v120, v18, v120                              // 000000009078: 0AF0F112
	v_mul_f32_e32 v121, v18, v121                              // 00000000907C: 0AF2F312
	v_mul_f32_e32 v122, v18, v122                              // 000000009080: 0AF4F512
	v_mul_f32_e32 v123, v18, v123                              // 000000009084: 0AF6F712
	v_mul_f32_e32 v124, v18, v124                              // 000000009088: 0AF8F912
	v_mul_f32_e32 v125, v18, v125                              // 00000000908C: 0AFAFB12
	v_mul_f32_e32 v126, v18, v126                              // 000000009090: 0AFCFD12
	v_mul_f32_e32 v127, v18, v127                              // 000000009094: 0AFEFF12
	buffer_load_dwordx4 a[16:19], v24, s[16:19], 0 offen       // 000000009098: E05C1000 80841018
	v_mul_f32_dpp v112, v248, v112 quad_perm:[0,0,0,0] row_mask:0xf bank_mask:0xf// 0000000090A0: 0AE0E0FA FF0000F8
	v_mul_f32_dpp v113, v248, v113 quad_perm:[1,1,1,1] row_mask:0xf bank_mask:0xf// 0000000090A8: 0AE2E2FA FF0055F8
	v_mul_f32_dpp v114, v248, v114 quad_perm:[2,2,2,2] row_mask:0xf bank_mask:0xf// 0000000090B0: 0AE4E4FA FF00AAF8
	v_mul_f32_dpp v115, v248, v115 quad_perm:[3,3,3,3] row_mask:0xf bank_mask:0xf// 0000000090B8: 0AE6E6FA FF00FFF8
	v_mul_f32_dpp v116, v249, v116 quad_perm:[0,0,0,0] row_mask:0xf bank_mask:0xf// 0000000090C0: 0AE8E8FA FF0000F9
	v_mul_f32_dpp v117, v249, v117 quad_perm:[1,1,1,1] row_mask:0xf bank_mask:0xf// 0000000090C8: 0AEAEAFA FF0055F9
	v_mul_f32_dpp v118, v249, v118 quad_perm:[2,2,2,2] row_mask:0xf bank_mask:0xf// 0000000090D0: 0AECECFA FF00AAF9
	v_mul_f32_dpp v119, v249, v119 quad_perm:[3,3,3,3] row_mask:0xf bank_mask:0xf// 0000000090D8: 0AEEEEFA FF00FFF9
	v_mul_f32_dpp v120, v250, v120 quad_perm:[0,0,0,0] row_mask:0xf bank_mask:0xf// 0000000090E0: 0AF0F0FA FF0000FA
	v_mul_f32_dpp v121, v250, v121 quad_perm:[1,1,1,1] row_mask:0xf bank_mask:0xf// 0000000090E8: 0AF2F2FA FF0055FA
	v_mul_f32_dpp v122, v250, v122 quad_perm:[2,2,2,2] row_mask:0xf bank_mask:0xf// 0000000090F0: 0AF4F4FA FF00AAFA
	v_mul_f32_dpp v123, v250, v123 quad_perm:[3,3,3,3] row_mask:0xf bank_mask:0xf// 0000000090F8: 0AF6F6FA FF00FFFA
	v_mul_f32_dpp v124, v251, v124 quad_perm:[0,0,0,0] row_mask:0xf bank_mask:0xf// 000000009100: 0AF8F8FA FF0000FB
	v_mul_f32_dpp v125, v251, v125 quad_perm:[1,1,1,1] row_mask:0xf bank_mask:0xf// 000000009108: 0AFAFAFA FF0055FB
	v_mul_f32_dpp v126, v251, v126 quad_perm:[2,2,2,2] row_mask:0xf bank_mask:0xf// 000000009110: 0AFCFCFA FF00AAFB
	v_mul_f32_dpp v127, v251, v127 quad_perm:[3,3,3,3] row_mask:0xf bank_mask:0xf// 000000009118: 0AFEFEFA FF00FFFB
	buffer_load_dwordx4 a[20:23], v24, s[16:19], 0 offen offset:1024// 000000009120: E05C1400 80841418
	s_cmp_le_i32 s90, s89                                      // 000000009128: BF05595A
	s_cbranch_scc1 label_1C3D                                  // 00000000912C: BF850071
	v_mov_b32_e32 v66, 0xff800000                              // 000000009130: 7E8402FF FF800000
	s_mov_b32 s60, s90                                         // 000000009138: BEBC005A
	s_add_u32 s61, s89, 0xff                                   // 00000000913C: 803DFF59 000000FF
	v_mov_b32_e32 v64, s61                                     // 000000009144: 7E80023D
	v_lshrrev_b32_e32 v240, 4, v0                              // 000000009148: 21E00084
	v_mul_i32_i24_e32 v240, 4, v240                            // 00000000914C: 0DE1E084
	v_add_u32_e32 v240, s60, v240                              // 000000009150: 69E1E03C
	s_mov_b32 s61, 0                                           // 000000009154: BEBD0080
	s_mul_i32 s60, 16, s7                                      // 000000009158: 923C0790
	v_sub_u32_e64 v240, v240, s61                              // 00000000915C: D13500F0 00007BF0
	v_add_u32_e32 v240, s60, v240                              // 000000009164: 69E1E03C
	v_add_u32_e32 v241, 1, v240                                // 000000009168: 69E3E081
	v_add_u32_e32 v242, 2, v240                                // 00000000916C: 69E5E082
	v_add_u32_e32 v243, 3, v240                                // 000000009170: 69E7E083
	v_cmp_le_u32_e64 s[40:41], v240, v64                       // 000000009174: D0CB0028 000281F0
	v_add_u32_e32 v240, 64, v240                               // 00000000917C: 69E1E0C0
	s_nop 0                                                    // 000000009180: BF800000
	v_cndmask_b32_e64 v112, v66, v112, s[40:41]                // 000000009184: D1000070 00A2E142
	v_cmp_le_u32_e64 s[40:41], v241, v64                       // 00000000918C: D0CB0028 000281F1
	v_add_u32_e32 v241, 64, v241                               // 000000009194: 69E3E2C0
	s_nop 0                                                    // 000000009198: BF800000
	v_cndmask_b32_e64 v113, v66, v113, s[40:41]                // 00000000919C: D1000071 00A2E342
	v_cmp_le_u32_e64 s[40:41], v242, v64                       // 0000000091A4: D0CB0028 000281F2
	v_add_u32_e32 v242, 64, v242                               // 0000000091AC: 69E5E4C0
	s_nop 0                                                    // 0000000091B0: BF800000
	v_cndmask_b32_e64 v114, v66, v114, s[40:41]                // 0000000091B4: D1000072 00A2E542
	v_cmp_le_u32_e64 s[40:41], v243, v64                       // 0000000091BC: D0CB0028 000281F3
	v_add_u32_e32 v243, 64, v243                               // 0000000091C4: 69E7E6C0
	s_nop 0                                                    // 0000000091C8: BF800000
	v_cndmask_b32_e64 v115, v66, v115, s[40:41]                // 0000000091CC: D1000073 00A2E742
	v_cmp_le_u32_e64 s[40:41], v240, v64                       // 0000000091D4: D0CB0028 000281F0
	v_add_u32_e32 v240, 64, v240                               // 0000000091DC: 69E1E0C0
	s_nop 0                                                    // 0000000091E0: BF800000
	v_cndmask_b32_e64 v116, v66, v116, s[40:41]                // 0000000091E4: D1000074 00A2E942
	v_cmp_le_u32_e64 s[40:41], v241, v64                       // 0000000091EC: D0CB0028 000281F1
	v_add_u32_e32 v241, 64, v241                               // 0000000091F4: 69E3E2C0
	s_nop 0                                                    // 0000000091F8: BF800000
	v_cndmask_b32_e64 v117, v66, v117, s[40:41]                // 0000000091FC: D1000075 00A2EB42
	v_cmp_le_u32_e64 s[40:41], v242, v64                       // 000000009204: D0CB0028 000281F2
	v_add_u32_e32 v242, 64, v242                               // 00000000920C: 69E5E4C0
	s_nop 0                                                    // 000000009210: BF800000
	v_cndmask_b32_e64 v118, v66, v118, s[40:41]                // 000000009214: D1000076 00A2ED42
	v_cmp_le_u32_e64 s[40:41], v243, v64                       // 00000000921C: D0CB0028 000281F3
	v_add_u32_e32 v243, 64, v243                               // 000000009224: 69E7E6C0
	s_nop 0                                                    // 000000009228: BF800000
	v_cndmask_b32_e64 v119, v66, v119, s[40:41]                // 00000000922C: D1000077 00A2EF42
	v_cmp_le_u32_e64 s[40:41], v240, v64                       // 000000009234: D0CB0028 000281F0
	v_add_u32_e32 v240, 64, v240                               // 00000000923C: 69E1E0C0
	s_nop 0                                                    // 000000009240: BF800000
	v_cndmask_b32_e64 v120, v66, v120, s[40:41]                // 000000009244: D1000078 00A2F142
	v_cmp_le_u32_e64 s[40:41], v241, v64                       // 00000000924C: D0CB0028 000281F1
	v_add_u32_e32 v241, 64, v241                               // 000000009254: 69E3E2C0
	s_nop 0                                                    // 000000009258: BF800000
	v_cndmask_b32_e64 v121, v66, v121, s[40:41]                // 00000000925C: D1000079 00A2F342
	v_cmp_le_u32_e64 s[40:41], v242, v64                       // 000000009264: D0CB0028 000281F2
	v_add_u32_e32 v242, 64, v242                               // 00000000926C: 69E5E4C0
	s_nop 0                                                    // 000000009270: BF800000
	v_cndmask_b32_e64 v122, v66, v122, s[40:41]                // 000000009274: D100007A 00A2F542
	v_cmp_le_u32_e64 s[40:41], v243, v64                       // 00000000927C: D0CB0028 000281F3
	v_add_u32_e32 v243, 64, v243                               // 000000009284: 69E7E6C0
	s_nop 0                                                    // 000000009288: BF800000
	v_cndmask_b32_e64 v123, v66, v123, s[40:41]                // 00000000928C: D100007B 00A2F742
	v_cmp_le_u32_e64 s[40:41], v240, v64                       // 000000009294: D0CB0028 000281F0
	v_add_u32_e32 v240, 64, v240                               // 00000000929C: 69E1E0C0
	s_nop 0                                                    // 0000000092A0: BF800000
	v_cndmask_b32_e64 v124, v66, v124, s[40:41]                // 0000000092A4: D100007C 00A2F942
	v_cmp_le_u32_e64 s[40:41], v241, v64                       // 0000000092AC: D0CB0028 000281F1
	v_add_u32_e32 v241, 64, v241                               // 0000000092B4: 69E3E2C0
	s_nop 0                                                    // 0000000092B8: BF800000
	v_cndmask_b32_e64 v125, v66, v125, s[40:41]                // 0000000092BC: D100007D 00A2FB42
	v_cmp_le_u32_e64 s[40:41], v242, v64                       // 0000000092C4: D0CB0028 000281F2
	v_add_u32_e32 v242, 64, v242                               // 0000000092CC: 69E5E4C0
	s_nop 0                                                    // 0000000092D0: BF800000
	v_cndmask_b32_e64 v126, v66, v126, s[40:41]                // 0000000092D4: D100007E 00A2FD42
	v_cmp_le_u32_e64 s[40:41], v243, v64                       // 0000000092DC: D0CB0028 000281F3
	v_add_u32_e32 v243, 64, v243                               // 0000000092E4: 69E7E6C0
	s_nop 0                                                    // 0000000092E8: BF800000
	v_cndmask_b32_e64 v127, v66, v127, s[40:41]                // 0000000092EC: D100007F 00A2FF42

00000000000092f4 <label_1C3D>:
	v_mov_b32_e32 v48, v112                                    // 0000000092F4: 7E600370
	v_max3_f32 v48, v112, v113, v48                            // 0000000092F8: D1D30030 04C2E370
	v_max3_f32 v48, v114, v115, v48                            // 000000009300: D1D30030 04C2E772
	v_max3_f32 v48, v116, v117, v48                            // 000000009308: D1D30030 04C2EB74
	v_max3_f32 v48, v118, v119, v48                            // 000000009310: D1D30030 04C2EF76
	v_max3_f32 v48, v120, v121, v48                            // 000000009318: D1D30030 04C2F378
	v_max3_f32 v48, v122, v123, v48                            // 000000009320: D1D30030 04C2F77A
	v_max3_f32 v48, v124, v125, v48                            // 000000009328: D1D30030 04C2FB7C
	v_max3_f32 v48, v126, v127, v48                            // 000000009330: D1D30030 04C2FF7E
	ds_write_b32 v8, v48 offset:16896                          // 000000009338: D81A4200 00003008
	buffer_load_dwordx4 a[24:27], v25, s[16:19], 0 offen       // 000000009340: E05C1000 80841819
	v_mul_u32_u24_dpp v64, v16, v54 row_newbcast:1 row_mask:0xf bank_mask:0xf// 000000009348: 10806CFA FF015110
	v_mul_u32_u24_dpp v65, v16, v54 row_newbcast:5 row_mask:0xf bank_mask:0xf// 000000009350: 10826CFA FF015510
	v_mul_u32_u24_dpp v66, v16, v54 row_newbcast:9 row_mask:0xf bank_mask:0xf// 000000009358: 10846CFA FF015910
	v_mul_u32_u24_dpp v67, v16, v54 row_newbcast:13 row_mask:0xf bank_mask:0xf// 000000009360: 10866CFA FF015D10
	v_add_u32_e32 v30, v64, v6                                 // 000000009368: 683C0D40
	v_add_u32_e32 v31, v65, v6                                 // 00000000936C: 683E0D41
	v_add_u32_e32 v32, v66, v6                                 // 000000009370: 68400D42
	v_add_u32_e32 v33, v67, v6                                 // 000000009374: 68420D43
	v_mul_f32_e32 v208, v49, v208                              // 000000009378: 0BA1A131
	v_mul_f32_e32 v209, v49, v209                              // 00000000937C: 0BA3A331
	v_mul_f32_e32 v210, v49, v210                              // 000000009380: 0BA5A531
	v_mul_f32_e32 v211, v49, v211                              // 000000009384: 0BA7A731
	v_mul_f32_e32 v212, v49, v212                              // 000000009388: 0BA9A931
	v_mul_f32_e32 v213, v49, v213                              // 00000000938C: 0BABAB31
	v_mul_f32_e32 v214, v49, v214                              // 000000009390: 0BADAD31
	v_mul_f32_e32 v215, v49, v215                              // 000000009394: 0BAFAF31
	s_waitcnt lgkmcnt(0)                                       // 000000009398: BF8CC07F
	s_barrier                                                  // 00000000939C: BF8A0000
	ds_read_b32 v64, v7 offset:16896                           // 0000000093A0: D86C4200 40000007
	ds_read_b32 v65, v7 offset:16960                           // 0000000093A8: D86C4240 41000007
	ds_read_b32 v66, v7 offset:17024                           // 0000000093B0: D86C4280 42000007
	ds_read_b32 v67, v7 offset:17088                           // 0000000093B8: D86C42C0 43000007
	ds_read_b32 v68, v7 offset:17152                           // 0000000093C0: D86C4300 44000007
	ds_read_b32 v69, v7 offset:17216                           // 0000000093C8: D86C4340 45000007
	ds_read_b32 v70, v7 offset:17280                           // 0000000093D0: D86C4380 46000007
	ds_read_b32 v71, v7 offset:17344                           // 0000000093D8: D86C43C0 47000007
	ds_read_b32 v72, v7 offset:17408                           // 0000000093E0: D86C4400 48000007
	ds_read_b32 v73, v7 offset:17472                           // 0000000093E8: D86C4440 49000007
	ds_read_b32 v74, v7 offset:17536                           // 0000000093F0: D86C4480 4A000007
	ds_read_b32 v75, v7 offset:17600                           // 0000000093F8: D86C44C0 4B000007
	ds_read_b32 v76, v7 offset:17664                           // 000000009400: D86C4500 4C000007
	ds_read_b32 v77, v7 offset:17728                           // 000000009408: D86C4540 4D000007
	ds_read_b32 v78, v7 offset:17792                           // 000000009410: D86C4580 4E000007
	ds_read_b32 v79, v7 offset:17856                           // 000000009418: D86C45C0 4F000007
	buffer_load_dwordx4 a[28:31], v25, s[16:19], 0 offen offset:1024// 000000009420: E05C1400 80841C19
	v_mul_f32_e32 v176, v44, v176                              // 000000009428: 0B61612C
	v_mul_f32_e32 v177, v44, v177                              // 00000000942C: 0B63632C
	v_mul_f32_e32 v178, v44, v178                              // 000000009430: 0B65652C
	v_mul_f32_e32 v179, v44, v179                              // 000000009434: 0B67672C
	v_mul_f32_e32 v180, v44, v180                              // 000000009438: 0B69692C
	v_mul_f32_e32 v181, v44, v181                              // 00000000943C: 0B6B6B2C
	v_mul_f32_e32 v182, v44, v182                              // 000000009440: 0B6D6D2C
	v_mul_f32_e32 v183, v44, v183                              // 000000009444: 0B6F6F2C
	s_waitcnt lgkmcnt(0)                                       // 000000009448: BF8CC07F
	v_max3_f32 v48, v64, v65, v48                              // 00000000944C: D1D30030 04C28340
	v_max3_f32 v48, v66, v67, v48                              // 000000009454: D1D30030 04C28742
	v_max3_f32 v48, v68, v69, v48                              // 00000000945C: D1D30030 04C28B44
	v_max3_f32 v48, v70, v71, v48                              // 000000009464: D1D30030 04C28F46
	v_max3_f32 v48, v72, v73, v48                              // 00000000946C: D1D30030 04C29348
	v_max3_f32 v48, v74, v75, v48                              // 000000009474: D1D30030 04C2974A
	v_max3_f32 v48, v76, v77, v48                              // 00000000947C: D1D30030 04C29B4C
	v_max3_f32 v48, v78, v79, v48                              // 000000009484: D1D30030 04C29F4E
	buffer_load_dwordx4 a[64:67], v30, s[20:23], 0 offen       // 00000000948C: E05C1000 8085401E
	v_mov_b32_e32 v64, 0xff800000                              // 000000009494: 7E8002FF FF800000
	v_cmp_eq_u32_e64 s[40:41], v64, v11                        // 00000000949C: D0CA0028 00021740
	s_nop 1                                                    // 0000000094A4: BF800001
	v_max_f32_e32 v15, v48, v11                                // 0000000094A8: 161E1730
	v_mul_f32_e32 v53, s64, v15                                // 0000000094AC: 0A6A1E40
	v_fma_f32 v112, v112, s64, -v53                            // 0000000094B0: D1CB0070 84D48170
	v_fma_f32 v113, v113, s64, -v53                            // 0000000094B8: D1CB0071 84D48171
	v_fma_f32 v114, v114, s64, -v53                            // 0000000094C0: D1CB0072 84D48172
	v_fma_f32 v115, v115, s64, -v53                            // 0000000094C8: D1CB0073 84D48173
	v_fma_f32 v116, v116, s64, -v53                            // 0000000094D0: D1CB0074 84D48174
	v_fma_f32 v117, v117, s64, -v53                            // 0000000094D8: D1CB0075 84D48175
	v_fma_f32 v118, v118, s64, -v53                            // 0000000094E0: D1CB0076 84D48176
	v_fma_f32 v119, v119, s64, -v53                            // 0000000094E8: D1CB0077 84D48177
	v_fma_f32 v120, v120, s64, -v53                            // 0000000094F0: D1CB0078 84D48178
	v_fma_f32 v121, v121, s64, -v53                            // 0000000094F8: D1CB0079 84D48179
	v_fma_f32 v122, v122, s64, -v53                            // 000000009500: D1CB007A 84D4817A
	v_fma_f32 v123, v123, s64, -v53                            // 000000009508: D1CB007B 84D4817B
	v_fma_f32 v124, v124, s64, -v53                            // 000000009510: D1CB007C 84D4817C
	v_fma_f32 v125, v125, s64, -v53                            // 000000009518: D1CB007D 84D4817D
	v_fma_f32 v126, v126, s64, -v53                            // 000000009520: D1CB007E 84D4817E
	v_fma_f32 v127, v127, s64, -v53                            // 000000009528: D1CB007F 84D4817F
	buffer_load_dwordx4 a[68:71], v31, s[20:23], 0 offen       // 000000009530: E05C1000 8085441F
	v_exp_f32_e32 v112, v112                                   // 000000009538: 7EE04170
	v_exp_f32_e32 v113, v113                                   // 00000000953C: 7EE24171
	v_exp_f32_e32 v114, v114                                   // 000000009540: 7EE44172
	v_exp_f32_e32 v115, v115                                   // 000000009544: 7EE64173
	v_exp_f32_e32 v116, v116                                   // 000000009548: 7EE84174
	v_exp_f32_e32 v117, v117                                   // 00000000954C: 7EEA4175
	v_exp_f32_e32 v118, v118                                   // 000000009550: 7EEC4176
	v_exp_f32_e32 v119, v119                                   // 000000009554: 7EEE4177
	v_exp_f32_e32 v120, v120                                   // 000000009558: 7EF04178
	v_exp_f32_e32 v121, v121                                   // 00000000955C: 7EF24179
	v_exp_f32_e32 v122, v122                                   // 000000009560: 7EF4417A
	v_exp_f32_e32 v123, v123                                   // 000000009564: 7EF6417B
	v_exp_f32_e32 v124, v124                                   // 000000009568: 7EF8417C
	v_exp_f32_e32 v125, v125                                   // 00000000956C: 7EFA417D
	v_exp_f32_e32 v126, v126                                   // 000000009570: 7EFC417E
	v_exp_f32_e32 v127, v127                                   // 000000009574: 7EFE417F
	buffer_load_dwordx4 a[72:75], v32, s[20:23], 0 offen       // 000000009578: E05C1000 80854820
	v_mul_f32_dpp v240, v252, v112 quad_perm:[0,0,0,0] row_mask:0xf bank_mask:0xf// 000000009580: 0BE0E0FA FF0000FC
	v_mul_f32_dpp v241, v252, v113 quad_perm:[1,1,1,1] row_mask:0xf bank_mask:0xf// 000000009588: 0BE2E2FA FF0055FC
	v_mul_f32_dpp v242, v252, v114 quad_perm:[2,2,2,2] row_mask:0xf bank_mask:0xf// 000000009590: 0BE4E4FA FF00AAFC
	v_mul_f32_dpp v243, v252, v115 quad_perm:[3,3,3,3] row_mask:0xf bank_mask:0xf// 000000009598: 0BE6E6FA FF00FFFC
	v_mul_f32_dpp v244, v253, v116 quad_perm:[0,0,0,0] row_mask:0xf bank_mask:0xf// 0000000095A0: 0BE8E8FA FF0000FD
	v_mul_f32_dpp v245, v253, v117 quad_perm:[1,1,1,1] row_mask:0xf bank_mask:0xf// 0000000095A8: 0BEAEAFA FF0055FD
	v_mul_f32_dpp v246, v253, v118 quad_perm:[2,2,2,2] row_mask:0xf bank_mask:0xf// 0000000095B0: 0BECECFA FF00AAFD
	v_mul_f32_dpp v247, v253, v119 quad_perm:[3,3,3,3] row_mask:0xf bank_mask:0xf// 0000000095B8: 0BEEEEFA FF00FFFD
	v_mul_f32_dpp v248, v254, v120 quad_perm:[0,0,0,0] row_mask:0xf bank_mask:0xf// 0000000095C0: 0BF0F0FA FF0000FE
	v_mul_f32_dpp v249, v254, v121 quad_perm:[1,1,1,1] row_mask:0xf bank_mask:0xf// 0000000095C8: 0BF2F2FA FF0055FE
	v_mul_f32_dpp v250, v254, v122 quad_perm:[2,2,2,2] row_mask:0xf bank_mask:0xf// 0000000095D0: 0BF4F4FA FF00AAFE
	v_mul_f32_dpp v251, v254, v123 quad_perm:[3,3,3,3] row_mask:0xf bank_mask:0xf// 0000000095D8: 0BF6F6FA FF00FFFE
	v_mul_f32_dpp v252, v255, v124 quad_perm:[0,0,0,0] row_mask:0xf bank_mask:0xf// 0000000095E0: 0BF8F8FA FF0000FF
	v_mul_f32_dpp v253, v255, v125 quad_perm:[1,1,1,1] row_mask:0xf bank_mask:0xf// 0000000095E8: 0BFAFAFA FF0055FF
	v_mul_f32_dpp v254, v255, v126 quad_perm:[2,2,2,2] row_mask:0xf bank_mask:0xf// 0000000095F0: 0BFCFCFA FF00AAFF
	v_mul_f32_dpp v255, v255, v127 quad_perm:[3,3,3,3] row_mask:0xf bank_mask:0xf// 0000000095F8: 0BFEFEFA FF00FFFF
	v_mov_b32_e32 v48, 0x358637bd                              // 000000009600: 7E6002FF 358637BD
	v_max3_f32 v48, |v240|, |v241|, v48                        // 000000009608: D1D30330 04C3E3F0
	v_max3_f32 v48, |v242|, |v243|, v48                        // 000000009610: D1D30330 04C3E7F2
	v_max3_f32 v48, |v244|, |v245|, v48                        // 000000009618: D1D30330 04C3EBF4
	v_max3_f32 v48, |v246|, |v247|, v48                        // 000000009620: D1D30330 04C3EFF6
	v_max3_f32 v48, |v248|, |v249|, v48                        // 000000009628: D1D30330 04C3F3F8
	v_max3_f32 v48, |v250|, |v251|, v48                        // 000000009630: D1D30330 04C3F7FA
	v_max3_f32 v48, |v252|, |v253|, v48                        // 000000009638: D1D30330 04C3FBFC
	v_max3_f32 v48, |v254|, |v255|, v48                        // 000000009640: D1D30330 04C3FFFE
	buffer_load_dwordx4 a[76:79], v33, s[20:23], 0 offen       // 000000009648: E05C1000 80854C21
	ds_write_b32 v8, v48 offset:20992                          // 000000009650: D81A5200 00003008
	v_sub_f32_e32 v49, v11, v15                                // 000000009658: 04621F0B
	v_cndmask_b32_e64 v49, v49, 0, s[40:41]                    // 00000000965C: D1000031 00A10131
	v_mov_b32_e32 v11, v15                                     // 000000009664: 7E16030F
	v_mul_f32_e32 v49, s64, v49                                // 000000009668: 0A626240
	v_exp_f32_e32 v49, v49                                     // 00000000966C: 7E624131
	s_waitcnt lgkmcnt(0)                                       // 000000009670: BF8CC07F
	s_barrier                                                  // 000000009674: BF8A0000
	ds_read_b32 v64, v7 offset:20992                           // 000000009678: D86C5200 40000007
	ds_read_b32 v65, v7 offset:21056                           // 000000009680: D86C5240 41000007
	ds_read_b32 v66, v7 offset:21120                           // 000000009688: D86C5280 42000007
	ds_read_b32 v67, v7 offset:21184                           // 000000009690: D86C52C0 43000007
	ds_read_b32 v68, v7 offset:21248                           // 000000009698: D86C5300 44000007
	ds_read_b32 v69, v7 offset:21312                           // 0000000096A0: D86C5340 45000007
	ds_read_b32 v70, v7 offset:21376                           // 0000000096A8: D86C5380 46000007
	ds_read_b32 v71, v7 offset:21440                           // 0000000096B0: D86C53C0 47000007
	ds_read_b32 v72, v7 offset:21504                           // 0000000096B8: D86C5400 48000007
	ds_read_b32 v73, v7 offset:21568                           // 0000000096C0: D86C5440 49000007
	ds_read_b32 v74, v7 offset:21632                           // 0000000096C8: D86C5480 4A000007
	ds_read_b32 v75, v7 offset:21696                           // 0000000096D0: D86C54C0 4B000007
	ds_read_b32 v76, v7 offset:21760                           // 0000000096D8: D86C5500 4C000007
	ds_read_b32 v77, v7 offset:21824                           // 0000000096E0: D86C5540 4D000007
	ds_read_b32 v78, v7 offset:21888                           // 0000000096E8: D86C5580 4E000007
	ds_read_b32 v79, v7 offset:21952                           // 0000000096F0: D86C55C0 4F000007
	v_mul_f32_e32 v38, v49, v38                                // 0000000096F8: 0A4C4D31
	v_mov_b32_e32 v15, v112                                    // 0000000096FC: 7E1E0370
	v_add_f32_e32 v15, v113, v15                               // 000000009700: 021E1F71
	v_add_f32_e32 v15, v114, v15                               // 000000009704: 021E1F72
	v_add_f32_e32 v15, v115, v15                               // 000000009708: 021E1F73
	v_add_f32_e32 v15, v116, v15                               // 00000000970C: 021E1F74
	v_add_f32_e32 v15, v117, v15                               // 000000009710: 021E1F75
	v_add_f32_e32 v15, v118, v15                               // 000000009714: 021E1F76
	v_add_f32_e32 v15, v119, v15                               // 000000009718: 021E1F77
	v_add_f32_e32 v15, v120, v15                               // 00000000971C: 021E1F78
	v_add_f32_e32 v15, v121, v15                               // 000000009720: 021E1F79
	v_add_f32_e32 v15, v122, v15                               // 000000009724: 021E1F7A
	v_add_f32_e32 v15, v123, v15                               // 000000009728: 021E1F7B
	v_add_f32_e32 v15, v124, v15                               // 00000000972C: 021E1F7C
	v_add_f32_e32 v15, v125, v15                               // 000000009730: 021E1F7D
	v_add_f32_e32 v15, v126, v15                               // 000000009734: 021E1F7E
	v_add_f32_e32 v15, v127, v15                               // 000000009738: 021E1F7F
	v_add_f32_e32 v38, v15, v38                                // 00000000973C: 024C4D0F
	s_waitcnt lgkmcnt(0)                                       // 000000009740: BF8CC07F
	v_max3_f32 v48, |v64|, |v65|, v48                          // 000000009744: D1D30330 04C28340
	v_max3_f32 v48, |v66|, |v67|, v48                          // 00000000974C: D1D30330 04C28742
	v_max3_f32 v48, |v68|, |v69|, v48                          // 000000009754: D1D30330 04C28B44
	v_max3_f32 v48, |v70|, |v71|, v48                          // 00000000975C: D1D30330 04C28F46
	v_max3_f32 v48, |v72|, |v73|, v48                          // 000000009764: D1D30330 04C29348
	v_max3_f32 v48, |v74|, |v75|, v48                          // 00000000976C: D1D30330 04C2974A
	v_max3_f32 v48, |v76|, |v77|, v48                          // 000000009774: D1D30330 04C29B4C
	v_max3_f32 v48, |v78|, |v79|, v48                          // 00000000977C: D1D30330 04C29F4E
	s_nop 2                                                    // 000000009784: BF800002
	v_rcp_f32_e32 v48, v48                                     // 000000009788: 7E604530
	s_nop 1                                                    // 00000000978C: BF800001
	v_mul_f32_e32 v48, 0x43e00000, v48                         // 000000009790: 0A6060FF 43E00000
	v_mul_f32_e32 v112, v48, v240                              // 000000009798: 0AE1E130
	v_mul_f32_e32 v113, v48, v241                              // 00000000979C: 0AE3E330
	v_mul_f32_e32 v114, v48, v242                              // 0000000097A0: 0AE5E530
	v_mul_f32_e32 v115, v48, v243                              // 0000000097A4: 0AE7E730
	v_mul_f32_e32 v116, v48, v244                              // 0000000097A8: 0AE9E930
	v_mul_f32_e32 v117, v48, v245                              // 0000000097AC: 0AEBEB30
	v_mul_f32_e32 v118, v48, v246                              // 0000000097B0: 0AEDED30
	v_mul_f32_e32 v119, v48, v247                              // 0000000097B4: 0AEFEF30
	v_mul_f32_e32 v120, v48, v248                              // 0000000097B8: 0AF1F130
	v_mul_f32_e32 v121, v48, v249                              // 0000000097BC: 0AF3F330
	v_mul_f32_e32 v122, v48, v250                              // 0000000097C0: 0AF5F530
	v_mul_f32_e32 v123, v48, v251                              // 0000000097C4: 0AF7F730
	v_mul_f32_e32 v124, v48, v252                              // 0000000097C8: 0AF9F930
	v_mul_f32_e32 v125, v48, v253                              // 0000000097CC: 0AFBFB30
	v_mul_f32_e32 v126, v48, v254                              // 0000000097D0: 0AFDFD30
	v_mul_f32_e32 v127, v48, v255                              // 0000000097D4: 0AFFFF30
	v_cvt_pk_fp8_f32 v112, v112, v113                          // 0000000097D8: D2A20070 0002E370
	v_cvt_pk_fp8_f32 v112, v114, v115 op_sel:[0,0,1]           // 0000000097E0: D2A24070 0002E772
	v_cvt_pk_fp8_f32 v113, v116, v117                          // 0000000097E8: D2A20071 0002EB74
	v_cvt_pk_fp8_f32 v113, v118, v119 op_sel:[0,0,1]           // 0000000097F0: D2A24071 0002EF76
	v_cvt_pk_fp8_f32 v114, v120, v121                          // 0000000097F8: D2A20072 0002F378
	v_cvt_pk_fp8_f32 v114, v122, v123 op_sel:[0,0,1]           // 000000009800: D2A24072 0002F77A
	v_cvt_pk_fp8_f32 v115, v124, v125                          // 000000009808: D2A20073 0002FB7C
	v_cvt_pk_fp8_f32 v115, v126, v127 op_sel:[0,0,1]           // 000000009810: D2A24073 0002FF7E
	ds_write_b32 v10, v112 offset:25088                        // 000000009818: D81A6200 0000700A
	ds_write_b32 v10, v113 offset:26112                        // 000000009820: D81A6600 0000710A
	ds_write_b32 v10, v114 offset:27136                        // 000000009828: D81A6A00 0000720A
	ds_write_b32 v10, v115 offset:28160                        // 000000009830: D81A6E00 0000730A
	v_add_f32_e32 v208, v208, v176                             // 000000009838: 03A161D0
	v_add_f32_e32 v209, v209, v177                             // 00000000983C: 03A363D1
	v_add_f32_e32 v210, v210, v178                             // 000000009840: 03A565D2
	v_add_f32_e32 v211, v211, v179                             // 000000009844: 03A767D3
	v_add_f32_e32 v212, v212, v180                             // 000000009848: 03A969D4
	v_add_f32_e32 v213, v213, v181                             // 00000000984C: 03AB6BD5
	v_add_f32_e32 v214, v214, v182                             // 000000009850: 03AD6DD6
	v_add_f32_e32 v215, v215, v183                             // 000000009854: 03AF6FD7
	v_rcp_f32_e32 v44, v48                                     // 000000009858: 7E584530
	s_waitcnt lgkmcnt(0)                                       // 00000000985C: BF8CC07F
	s_barrier                                                  // 000000009860: BF8A0000
	ds_read_b64 v[112:113], v9 offset:25088                    // 000000009864: D8EC6200 70000009
	ds_read_b64 v[114:115], v9 offset:25216                    // 00000000986C: D8EC6280 72000009
	ds_read_b64 v[116:117], v9 offset:26112                    // 000000009874: D8EC6600 74000009
	ds_read_b64 v[118:119], v9 offset:26240                    // 00000000987C: D8EC6680 76000009
	ds_read_b64 v[120:121], v9 offset:27136                    // 000000009884: D8EC6A00 78000009
	ds_read_b64 v[122:123], v9 offset:27264                    // 00000000988C: D8EC6A80 7A000009
	ds_read_b64 v[124:125], v9 offset:28160                    // 000000009894: D8EC6E00 7C000009
	ds_read_b64 v[126:127], v9 offset:28288                    // 00000000989C: D8EC6E80 7E000009
	v_mov_b32_dpp v64, v43 row_shr:4 row_mask:0xf bank_mask:0xf// 0000000098A4: 7E8002FA FF01142B
	v_mov_b32_dpp v65, v43 row_shl:4 row_mask:0xf bank_mask:0xf// 0000000098AC: 7E8202FA FF01042B
	v_cndmask_b32_e64 v248, v43, v64, s[44:45]                 // 0000000098B4: D10000F8 00B2812B
	v_cndmask_b32_e64 v249, v65, v43, s[44:45]                 // 0000000098BC: D10000F9 00B25741
	v_mov_b32_dpp v64, v248 row_shr:8 row_mask:0xf bank_mask:0xf// 0000000098C4: 7E8002FA FF0118F8
	v_mov_b32_dpp v65, v248 row_shl:8 row_mask:0xf bank_mask:0xf// 0000000098CC: 7E8202FA FF0108F8
	v_mov_b32_dpp v66, v249 row_shr:8 row_mask:0xf bank_mask:0xf// 0000000098D4: 7E8402FA FF0118F9
	v_mov_b32_dpp v67, v249 row_shl:8 row_mask:0xf bank_mask:0xf// 0000000098DC: 7E8602FA FF0108F9
	v_mov_b32_e32 v68, v248                                    // 0000000098E4: 7E8803F8
	v_mov_b32_e32 v69, v249                                    // 0000000098E8: 7E8A03F9
	v_cndmask_b32_e64 v248, v68, v64, s[42:43]                 // 0000000098EC: D10000F8 00AA8144
	v_cndmask_b32_e64 v250, v68, v65, s[78:79]                 // 0000000098F4: D10000FA 013A8344
	v_cndmask_b32_e64 v249, v69, v66, s[42:43]                 // 0000000098FC: D10000F9 00AA8545
	v_cndmask_b32_e64 v251, v69, v67, s[78:79]                 // 000000009904: D10000FB 013A8745
	v_mov_b32_dpp v64, v58 row_shr:4 row_mask:0xf bank_mask:0xf// 00000000990C: 7E8002FA FF01143A
	v_mov_b32_dpp v65, v58 row_shl:4 row_mask:0xf bank_mask:0xf// 000000009914: 7E8202FA FF01043A
	v_cndmask_b32_e64 v252, v58, v64, s[44:45]                 // 00000000991C: D10000FC 00B2813A
	v_cndmask_b32_e64 v253, v65, v58, s[44:45]                 // 000000009924: D10000FD 00B27541
	v_mov_b32_dpp v64, v252 row_shr:8 row_mask:0xf bank_mask:0xf// 00000000992C: 7E8002FA FF0118FC
	v_mov_b32_dpp v65, v252 row_shl:8 row_mask:0xf bank_mask:0xf// 000000009934: 7E8202FA FF0108FC
	v_mov_b32_dpp v66, v253 row_shr:8 row_mask:0xf bank_mask:0xf// 00000000993C: 7E8402FA FF0118FD
	v_mov_b32_dpp v67, v253 row_shl:8 row_mask:0xf bank_mask:0xf// 000000009944: 7E8602FA FF0108FD
	v_mov_b32_e32 v68, v252                                    // 00000000994C: 7E8803FC
	v_mov_b32_e32 v69, v253                                    // 000000009950: 7E8A03FD
	v_cndmask_b32_e64 v252, v68, v64, s[42:43]                 // 000000009954: D10000FC 00AA8144
	v_cndmask_b32_e64 v254, v68, v65, s[78:79]                 // 00000000995C: D10000FE 013A8344
	v_cndmask_b32_e64 v253, v69, v66, s[42:43]                 // 000000009964: D10000FD 00AA8545
	v_cndmask_b32_e64 v255, v69, v67, s[78:79]                 // 00000000996C: D10000FF 013A8745
	v_mul_f32_e32 v128, v19, v128                              // 000000009974: 0B010113
	v_mul_f32_e32 v129, v19, v129                              // 000000009978: 0B030313
	v_mul_f32_e32 v130, v19, v130                              // 00000000997C: 0B050513
	v_mul_f32_e32 v131, v19, v131                              // 000000009980: 0B070713
	v_mul_f32_e32 v132, v19, v132                              // 000000009984: 0B090913
	v_mul_f32_e32 v133, v19, v133                              // 000000009988: 0B0B0B13
	v_mul_f32_e32 v134, v19, v134                              // 00000000998C: 0B0D0D13
	v_mul_f32_e32 v135, v19, v135                              // 000000009990: 0B0F0F13
	v_mul_f32_e32 v136, v19, v136                              // 000000009994: 0B111113
	v_mul_f32_e32 v137, v19, v137                              // 000000009998: 0B131313
	v_mul_f32_e32 v138, v19, v138                              // 00000000999C: 0B151513
	v_mul_f32_e32 v139, v19, v139                              // 0000000099A0: 0B171713
	v_mul_f32_e32 v140, v19, v140                              // 0000000099A4: 0B191913
	v_mul_f32_e32 v141, v19, v141                              // 0000000099A8: 0B1B1B13
	v_mul_f32_e32 v142, v19, v142                              // 0000000099AC: 0B1D1D13
	v_mul_f32_e32 v143, v19, v143                              // 0000000099B0: 0B1F1F13
	v_mul_f32_dpp v128, v248, v128 quad_perm:[0,0,0,0] row_mask:0xf bank_mask:0xf// 0000000099B4: 0B0100FA FF0000F8
	v_mul_f32_dpp v129, v248, v129 quad_perm:[1,1,1,1] row_mask:0xf bank_mask:0xf// 0000000099BC: 0B0302FA FF0055F8
	v_mul_f32_dpp v130, v248, v130 quad_perm:[2,2,2,2] row_mask:0xf bank_mask:0xf// 0000000099C4: 0B0504FA FF00AAF8
	v_mul_f32_dpp v131, v248, v131 quad_perm:[3,3,3,3] row_mask:0xf bank_mask:0xf// 0000000099CC: 0B0706FA FF00FFF8
	v_mul_f32_dpp v132, v249, v132 quad_perm:[0,0,0,0] row_mask:0xf bank_mask:0xf// 0000000099D4: 0B0908FA FF0000F9
	v_mul_f32_dpp v133, v249, v133 quad_perm:[1,1,1,1] row_mask:0xf bank_mask:0xf// 0000000099DC: 0B0B0AFA FF0055F9
	v_mul_f32_dpp v134, v249, v134 quad_perm:[2,2,2,2] row_mask:0xf bank_mask:0xf// 0000000099E4: 0B0D0CFA FF00AAF9
	v_mul_f32_dpp v135, v249, v135 quad_perm:[3,3,3,3] row_mask:0xf bank_mask:0xf// 0000000099EC: 0B0F0EFA FF00FFF9
	v_mul_f32_dpp v136, v250, v136 quad_perm:[0,0,0,0] row_mask:0xf bank_mask:0xf// 0000000099F4: 0B1110FA FF0000FA
	v_mul_f32_dpp v137, v250, v137 quad_perm:[1,1,1,1] row_mask:0xf bank_mask:0xf// 0000000099FC: 0B1312FA FF0055FA
	v_mul_f32_dpp v138, v250, v138 quad_perm:[2,2,2,2] row_mask:0xf bank_mask:0xf// 000000009A04: 0B1514FA FF00AAFA
	v_mul_f32_dpp v139, v250, v139 quad_perm:[3,3,3,3] row_mask:0xf bank_mask:0xf// 000000009A0C: 0B1716FA FF00FFFA
	v_mul_f32_dpp v140, v251, v140 quad_perm:[0,0,0,0] row_mask:0xf bank_mask:0xf// 000000009A14: 0B1918FA FF0000FB
	v_mul_f32_dpp v141, v251, v141 quad_perm:[1,1,1,1] row_mask:0xf bank_mask:0xf// 000000009A1C: 0B1B1AFA FF0055FB
	v_mul_f32_dpp v142, v251, v142 quad_perm:[2,2,2,2] row_mask:0xf bank_mask:0xf// 000000009A24: 0B1D1CFA FF00AAFB
	v_mul_f32_dpp v143, v251, v143 quad_perm:[3,3,3,3] row_mask:0xf bank_mask:0xf// 000000009A2C: 0B1F1EFA FF00FFFB
	s_cmp_le_i32 s90, s89                                      // 000000009A34: BF05595A
	s_cbranch_scc1 label_1E80                                  // 000000009A38: BF850071
	v_mov_b32_e32 v66, 0xff800000                              // 000000009A3C: 7E8402FF FF800000
	s_mov_b32 s60, s90                                         // 000000009A44: BEBC005A
	s_add_u32 s61, s89, 0xff                                   // 000000009A48: 803DFF59 000000FF
	v_mov_b32_e32 v64, s61                                     // 000000009A50: 7E80023D
	v_lshrrev_b32_e32 v240, 4, v0                              // 000000009A54: 21E00084
	v_mul_i32_i24_e32 v240, 4, v240                            // 000000009A58: 0DE1E084
	v_add_u32_e32 v240, s60, v240                              // 000000009A5C: 69E1E03C
	s_mov_b32 s61, 1                                           // 000000009A60: BEBD0081
	s_mul_i32 s60, 16, s7                                      // 000000009A64: 923C0790
	v_sub_u32_e64 v240, v240, s61                              // 000000009A68: D13500F0 00007BF0
	v_add_u32_e32 v240, s60, v240                              // 000000009A70: 69E1E03C
	v_add_u32_e32 v241, 1, v240                                // 000000009A74: 69E3E081
	v_add_u32_e32 v242, 2, v240                                // 000000009A78: 69E5E082
	v_add_u32_e32 v243, 3, v240                                // 000000009A7C: 69E7E083
	v_cmp_le_u32_e64 s[40:41], v240, v64                       // 000000009A80: D0CB0028 000281F0
	v_add_u32_e32 v240, 64, v240                               // 000000009A88: 69E1E0C0
	s_nop 0                                                    // 000000009A8C: BF800000
	v_cndmask_b32_e64 v128, v66, v128, s[40:41]                // 000000009A90: D1000080 00A30142
	v_cmp_le_u32_e64 s[40:41], v241, v64                       // 000000009A98: D0CB0028 000281F1
	v_add_u32_e32 v241, 64, v241                               // 000000009AA0: 69E3E2C0
	s_nop 0                                                    // 000000009AA4: BF800000
	v_cndmask_b32_e64 v129, v66, v129, s[40:41]                // 000000009AA8: D1000081 00A30342
	v_cmp_le_u32_e64 s[40:41], v242, v64                       // 000000009AB0: D0CB0028 000281F2
	v_add_u32_e32 v242, 64, v242                               // 000000009AB8: 69E5E4C0
	s_nop 0                                                    // 000000009ABC: BF800000
	v_cndmask_b32_e64 v130, v66, v130, s[40:41]                // 000000009AC0: D1000082 00A30542
	v_cmp_le_u32_e64 s[40:41], v243, v64                       // 000000009AC8: D0CB0028 000281F3
	v_add_u32_e32 v243, 64, v243                               // 000000009AD0: 69E7E6C0
	s_nop 0                                                    // 000000009AD4: BF800000
	v_cndmask_b32_e64 v131, v66, v131, s[40:41]                // 000000009AD8: D1000083 00A30742
	v_cmp_le_u32_e64 s[40:41], v240, v64                       // 000000009AE0: D0CB0028 000281F0
	v_add_u32_e32 v240, 64, v240                               // 000000009AE8: 69E1E0C0
	s_nop 0                                                    // 000000009AEC: BF800000
	v_cndmask_b32_e64 v132, v66, v132, s[40:41]                // 000000009AF0: D1000084 00A30942
	v_cmp_le_u32_e64 s[40:41], v241, v64                       // 000000009AF8: D0CB0028 000281F1
	v_add_u32_e32 v241, 64, v241                               // 000000009B00: 69E3E2C0
	s_nop 0                                                    // 000000009B04: BF800000
	v_cndmask_b32_e64 v133, v66, v133, s[40:41]                // 000000009B08: D1000085 00A30B42
	v_cmp_le_u32_e64 s[40:41], v242, v64                       // 000000009B10: D0CB0028 000281F2
	v_add_u32_e32 v242, 64, v242                               // 000000009B18: 69E5E4C0
	s_nop 0                                                    // 000000009B1C: BF800000
	v_cndmask_b32_e64 v134, v66, v134, s[40:41]                // 000000009B20: D1000086 00A30D42
	v_cmp_le_u32_e64 s[40:41], v243, v64                       // 000000009B28: D0CB0028 000281F3
	v_add_u32_e32 v243, 64, v243                               // 000000009B30: 69E7E6C0
	s_nop 0                                                    // 000000009B34: BF800000
	v_cndmask_b32_e64 v135, v66, v135, s[40:41]                // 000000009B38: D1000087 00A30F42
	v_cmp_le_u32_e64 s[40:41], v240, v64                       // 000000009B40: D0CB0028 000281F0
	v_add_u32_e32 v240, 64, v240                               // 000000009B48: 69E1E0C0
	s_nop 0                                                    // 000000009B4C: BF800000
	v_cndmask_b32_e64 v136, v66, v136, s[40:41]                // 000000009B50: D1000088 00A31142
	v_cmp_le_u32_e64 s[40:41], v241, v64                       // 000000009B58: D0CB0028 000281F1
	v_add_u32_e32 v241, 64, v241                               // 000000009B60: 69E3E2C0
	s_nop 0                                                    // 000000009B64: BF800000
	v_cndmask_b32_e64 v137, v66, v137, s[40:41]                // 000000009B68: D1000089 00A31342
	v_cmp_le_u32_e64 s[40:41], v242, v64                       // 000000009B70: D0CB0028 000281F2
	v_add_u32_e32 v242, 64, v242                               // 000000009B78: 69E5E4C0
	s_nop 0                                                    // 000000009B7C: BF800000
	v_cndmask_b32_e64 v138, v66, v138, s[40:41]                // 000000009B80: D100008A 00A31542
	v_cmp_le_u32_e64 s[40:41], v243, v64                       // 000000009B88: D0CB0028 000281F3
	v_add_u32_e32 v243, 64, v243                               // 000000009B90: 69E7E6C0
	s_nop 0                                                    // 000000009B94: BF800000
	v_cndmask_b32_e64 v139, v66, v139, s[40:41]                // 000000009B98: D100008B 00A31742
	v_cmp_le_u32_e64 s[40:41], v240, v64                       // 000000009BA0: D0CB0028 000281F0
	v_add_u32_e32 v240, 64, v240                               // 000000009BA8: 69E1E0C0
	s_nop 0                                                    // 000000009BAC: BF800000
	v_cndmask_b32_e64 v140, v66, v140, s[40:41]                // 000000009BB0: D100008C 00A31942
	v_cmp_le_u32_e64 s[40:41], v241, v64                       // 000000009BB8: D0CB0028 000281F1
	v_add_u32_e32 v241, 64, v241                               // 000000009BC0: 69E3E2C0
	s_nop 0                                                    // 000000009BC4: BF800000
	v_cndmask_b32_e64 v141, v66, v141, s[40:41]                // 000000009BC8: D100008D 00A31B42
	v_cmp_le_u32_e64 s[40:41], v242, v64                       // 000000009BD0: D0CB0028 000281F2
	v_add_u32_e32 v242, 64, v242                               // 000000009BD8: 69E5E4C0
	s_nop 0                                                    // 000000009BDC: BF800000
	v_cndmask_b32_e64 v142, v66, v142, s[40:41]                // 000000009BE0: D100008E 00A31D42
	v_cmp_le_u32_e64 s[40:41], v243, v64                       // 000000009BE8: D0CB0028 000281F3
	v_add_u32_e32 v243, 64, v243                               // 000000009BF0: 69E7E6C0
	s_nop 0                                                    // 000000009BF4: BF800000
	v_cndmask_b32_e64 v143, v66, v143, s[40:41]                // 000000009BF8: D100008F 00A31F42

0000000000009c00 <label_1E80>:
	s_add_u32 s90, s91, s90                                    // 000000009C00: 805A5A5B
	v_mov_b32_e32 v48, v128                                    // 000000009C04: 7E600380
	v_max3_f32 v48, v128, v129, v48                            // 000000009C08: D1D30030 04C30380
	v_max3_f32 v48, v130, v131, v48                            // 000000009C10: D1D30030 04C30782
	v_max3_f32 v48, v132, v133, v48                            // 000000009C18: D1D30030 04C30B84
	v_max3_f32 v48, v134, v135, v48                            // 000000009C20: D1D30030 04C30F86
	v_max3_f32 v48, v136, v137, v48                            // 000000009C28: D1D30030 04C31388
	v_max3_f32 v48, v138, v139, v48                            // 000000009C30: D1D30030 04C3178A
	v_max3_f32 v48, v140, v141, v48                            // 000000009C38: D1D30030 04C31B8C
	v_max3_f32 v48, v142, v143, v48                            // 000000009C40: D1D30030 04C31F8E
	ds_write_b32 v8, v48 offset:16896                          // 000000009C48: D81A4200 00003008
	v_mul_f32_e32 v216, v50, v216                              // 000000009C50: 0BB1B132
	v_mul_f32_e32 v217, v50, v217                              // 000000009C54: 0BB3B332
	v_mul_f32_e32 v218, v50, v218                              // 000000009C58: 0BB5B532
	v_mul_f32_e32 v219, v50, v219                              // 000000009C5C: 0BB7B732
	v_mul_f32_e32 v220, v50, v220                              // 000000009C60: 0BB9B932
	v_mul_f32_e32 v221, v50, v221                              // 000000009C64: 0BBBBB32
	v_mul_f32_e32 v222, v50, v222                              // 000000009C68: 0BBDBD32
	v_mul_f32_e32 v223, v50, v223                              // 000000009C6C: 0BBFBF32
	s_waitcnt lgkmcnt(0)                                       // 000000009C70: BF8CC07F
	s_barrier                                                  // 000000009C74: BF8A0000
	ds_read_b32 v64, v7 offset:16896                           // 000000009C78: D86C4200 40000007
	ds_read_b32 v65, v7 offset:16960                           // 000000009C80: D86C4240 41000007
	ds_read_b32 v66, v7 offset:17024                           // 000000009C88: D86C4280 42000007
	ds_read_b32 v67, v7 offset:17088                           // 000000009C90: D86C42C0 43000007
	ds_read_b32 v68, v7 offset:17152                           // 000000009C98: D86C4300 44000007
	ds_read_b32 v69, v7 offset:17216                           // 000000009CA0: D86C4340 45000007
	ds_read_b32 v70, v7 offset:17280                           // 000000009CA8: D86C4380 46000007
	ds_read_b32 v71, v7 offset:17344                           // 000000009CB0: D86C43C0 47000007
	ds_read_b32 v72, v7 offset:17408                           // 000000009CB8: D86C4400 48000007
	ds_read_b32 v73, v7 offset:17472                           // 000000009CC0: D86C4440 49000007
	ds_read_b32 v74, v7 offset:17536                           // 000000009CC8: D86C4480 4A000007
	ds_read_b32 v75, v7 offset:17600                           // 000000009CD0: D86C44C0 4B000007
	ds_read_b32 v76, v7 offset:17664                           // 000000009CD8: D86C4500 4C000007
	ds_read_b32 v77, v7 offset:17728                           // 000000009CE0: D86C4540 4D000007
	ds_read_b32 v78, v7 offset:17792                           // 000000009CE8: D86C4580 4E000007
	ds_read_b32 v79, v7 offset:17856                           // 000000009CF0: D86C45C0 4F000007
	v_mul_f32_e32 v184, v45, v184                              // 000000009CF8: 0B71712D
	v_mul_f32_e32 v185, v45, v185                              // 000000009CFC: 0B73732D
	v_mul_f32_e32 v186, v45, v186                              // 000000009D00: 0B75752D
	v_mul_f32_e32 v187, v45, v187                              // 000000009D04: 0B77772D
	v_mul_f32_e32 v188, v45, v188                              // 000000009D08: 0B79792D
	v_mul_f32_e32 v189, v45, v189                              // 000000009D0C: 0B7B7B2D
	v_mul_f32_e32 v190, v45, v190                              // 000000009D10: 0B7D7D2D
	v_mul_f32_e32 v191, v45, v191                              // 000000009D14: 0B7F7F2D
	s_waitcnt lgkmcnt(0)                                       // 000000009D18: BF8CC07F
	v_max3_f32 v48, v64, v65, v48                              // 000000009D1C: D1D30030 04C28340
	v_max3_f32 v48, v66, v67, v48                              // 000000009D24: D1D30030 04C28742
	v_max3_f32 v48, v68, v69, v48                              // 000000009D2C: D1D30030 04C28B44
	v_max3_f32 v48, v70, v71, v48                              // 000000009D34: D1D30030 04C28F46
	v_max3_f32 v48, v72, v73, v48                              // 000000009D3C: D1D30030 04C29348
	v_max3_f32 v48, v74, v75, v48                              // 000000009D44: D1D30030 04C2974A
	v_max3_f32 v48, v76, v77, v48                              // 000000009D4C: D1D30030 04C29B4C
	v_max3_f32 v48, v78, v79, v48                              // 000000009D54: D1D30030 04C29F4E
	v_mov_b32_e32 v64, 0xff800000                              // 000000009D5C: 7E8002FF FF800000
	v_cmp_eq_u32_e64 s[40:41], v64, v12                        // 000000009D64: D0CA0028 00021940
	s_nop 1                                                    // 000000009D6C: BF800001
	v_max_f32_e32 v15, v48, v12                                // 000000009D70: 161E1930
	v_mul_f32_e32 v53, s64, v15                                // 000000009D74: 0A6A1E40
	v_fma_f32 v128, v128, s64, -v53                            // 000000009D78: D1CB0080 84D48180
	v_fma_f32 v129, v129, s64, -v53                            // 000000009D80: D1CB0081 84D48181
	v_fma_f32 v130, v130, s64, -v53                            // 000000009D88: D1CB0082 84D48182
	v_fma_f32 v131, v131, s64, -v53                            // 000000009D90: D1CB0083 84D48183
	v_fma_f32 v132, v132, s64, -v53                            // 000000009D98: D1CB0084 84D48184
	v_fma_f32 v133, v133, s64, -v53                            // 000000009DA0: D1CB0085 84D48185
	v_fma_f32 v134, v134, s64, -v53                            // 000000009DA8: D1CB0086 84D48186
	v_fma_f32 v135, v135, s64, -v53                            // 000000009DB0: D1CB0087 84D48187
	v_fma_f32 v136, v136, s64, -v53                            // 000000009DB8: D1CB0088 84D48188
	v_fma_f32 v137, v137, s64, -v53                            // 000000009DC0: D1CB0089 84D48189
	v_fma_f32 v138, v138, s64, -v53                            // 000000009DC8: D1CB008A 84D4818A
	v_fma_f32 v139, v139, s64, -v53                            // 000000009DD0: D1CB008B 84D4818B
	v_fma_f32 v140, v140, s64, -v53                            // 000000009DD8: D1CB008C 84D4818C
	v_fma_f32 v141, v141, s64, -v53                            // 000000009DE0: D1CB008D 84D4818D
	v_fma_f32 v142, v142, s64, -v53                            // 000000009DE8: D1CB008E 84D4818E
	v_fma_f32 v143, v143, s64, -v53                            // 000000009DF0: D1CB008F 84D4818F
	v_exp_f32_e32 v128, v128                                   // 000000009DF8: 7F004180
	v_exp_f32_e32 v129, v129                                   // 000000009DFC: 7F024181
	v_exp_f32_e32 v130, v130                                   // 000000009E00: 7F044182
	v_exp_f32_e32 v131, v131                                   // 000000009E04: 7F064183
	v_exp_f32_e32 v132, v132                                   // 000000009E08: 7F084184
	v_exp_f32_e32 v133, v133                                   // 000000009E0C: 7F0A4185
	v_exp_f32_e32 v134, v134                                   // 000000009E10: 7F0C4186
	v_exp_f32_e32 v135, v135                                   // 000000009E14: 7F0E4187
	v_exp_f32_e32 v136, v136                                   // 000000009E18: 7F104188
	v_exp_f32_e32 v137, v137                                   // 000000009E1C: 7F124189
	v_exp_f32_e32 v138, v138                                   // 000000009E20: 7F14418A
	v_exp_f32_e32 v139, v139                                   // 000000009E24: 7F16418B
	v_exp_f32_e32 v140, v140                                   // 000000009E28: 7F18418C
	v_exp_f32_e32 v141, v141                                   // 000000009E2C: 7F1A418D
	v_exp_f32_e32 v142, v142                                   // 000000009E30: 7F1C418E
	v_exp_f32_e32 v143, v143                                   // 000000009E34: 7F1E418F
	v_mul_f32_dpp v240, v252, v128 quad_perm:[0,0,0,0] row_mask:0xf bank_mask:0xf// 000000009E38: 0BE100FA FF0000FC
	v_mul_f32_dpp v241, v252, v129 quad_perm:[1,1,1,1] row_mask:0xf bank_mask:0xf// 000000009E40: 0BE302FA FF0055FC
	v_mul_f32_dpp v242, v252, v130 quad_perm:[2,2,2,2] row_mask:0xf bank_mask:0xf// 000000009E48: 0BE504FA FF00AAFC
	v_mul_f32_dpp v243, v252, v131 quad_perm:[3,3,3,3] row_mask:0xf bank_mask:0xf// 000000009E50: 0BE706FA FF00FFFC
	v_mul_f32_dpp v244, v253, v132 quad_perm:[0,0,0,0] row_mask:0xf bank_mask:0xf// 000000009E58: 0BE908FA FF0000FD
	v_mul_f32_dpp v245, v253, v133 quad_perm:[1,1,1,1] row_mask:0xf bank_mask:0xf// 000000009E60: 0BEB0AFA FF0055FD
	v_mul_f32_dpp v246, v253, v134 quad_perm:[2,2,2,2] row_mask:0xf bank_mask:0xf// 000000009E68: 0BED0CFA FF00AAFD
	v_mul_f32_dpp v247, v253, v135 quad_perm:[3,3,3,3] row_mask:0xf bank_mask:0xf// 000000009E70: 0BEF0EFA FF00FFFD
	v_mul_f32_dpp v248, v254, v136 quad_perm:[0,0,0,0] row_mask:0xf bank_mask:0xf// 000000009E78: 0BF110FA FF0000FE
	v_mul_f32_dpp v249, v254, v137 quad_perm:[1,1,1,1] row_mask:0xf bank_mask:0xf// 000000009E80: 0BF312FA FF0055FE
	v_mul_f32_dpp v250, v254, v138 quad_perm:[2,2,2,2] row_mask:0xf bank_mask:0xf// 000000009E88: 0BF514FA FF00AAFE
	v_mul_f32_dpp v251, v254, v139 quad_perm:[3,3,3,3] row_mask:0xf bank_mask:0xf// 000000009E90: 0BF716FA FF00FFFE
	v_mul_f32_dpp v252, v255, v140 quad_perm:[0,0,0,0] row_mask:0xf bank_mask:0xf// 000000009E98: 0BF918FA FF0000FF
	v_mul_f32_dpp v253, v255, v141 quad_perm:[1,1,1,1] row_mask:0xf bank_mask:0xf// 000000009EA0: 0BFB1AFA FF0055FF
	v_mul_f32_dpp v254, v255, v142 quad_perm:[2,2,2,2] row_mask:0xf bank_mask:0xf// 000000009EA8: 0BFD1CFA FF00AAFF
	v_mul_f32_dpp v255, v255, v143 quad_perm:[3,3,3,3] row_mask:0xf bank_mask:0xf// 000000009EB0: 0BFF1EFA FF00FFFF
	v_mov_b32_e32 v48, 0x358637bd                              // 000000009EB8: 7E6002FF 358637BD
	v_max3_f32 v48, |v240|, |v241|, v48                        // 000000009EC0: D1D30330 04C3E3F0
	v_max3_f32 v48, |v242|, |v243|, v48                        // 000000009EC8: D1D30330 04C3E7F2
	v_max3_f32 v48, |v244|, |v245|, v48                        // 000000009ED0: D1D30330 04C3EBF4
	v_max3_f32 v48, |v246|, |v247|, v48                        // 000000009ED8: D1D30330 04C3EFF6
	v_max3_f32 v48, |v248|, |v249|, v48                        // 000000009EE0: D1D30330 04C3F3F8
	v_max3_f32 v48, |v250|, |v251|, v48                        // 000000009EE8: D1D30330 04C3F7FA
	v_max3_f32 v48, |v252|, |v253|, v48                        // 000000009EF0: D1D30330 04C3FBFC
	v_max3_f32 v48, |v254|, |v255|, v48                        // 000000009EF8: D1D30330 04C3FFFE
	ds_write_b32 v8, v48 offset:20992                          // 000000009F00: D81A5200 00003008
	v_sub_f32_e32 v50, v12, v15                                // 000000009F08: 04641F0C
	v_cndmask_b32_e64 v50, v50, 0, s[40:41]                    // 000000009F0C: D1000032 00A10132
	v_mov_b32_e32 v12, v15                                     // 000000009F14: 7E18030F
	v_mul_f32_e32 v50, s64, v50                                // 000000009F18: 0A646440
	v_exp_f32_e32 v50, v50                                     // 000000009F1C: 7E644132
	s_waitcnt lgkmcnt(0)                                       // 000000009F20: BF8CC07F
	s_barrier                                                  // 000000009F24: BF8A0000
	ds_read_b32 v64, v7 offset:20992                           // 000000009F28: D86C5200 40000007
	ds_read_b32 v65, v7 offset:21056                           // 000000009F30: D86C5240 41000007
	ds_read_b32 v66, v7 offset:21120                           // 000000009F38: D86C5280 42000007
	ds_read_b32 v67, v7 offset:21184                           // 000000009F40: D86C52C0 43000007
	ds_read_b32 v68, v7 offset:21248                           // 000000009F48: D86C5300 44000007
	ds_read_b32 v69, v7 offset:21312                           // 000000009F50: D86C5340 45000007
	ds_read_b32 v70, v7 offset:21376                           // 000000009F58: D86C5380 46000007
	ds_read_b32 v71, v7 offset:21440                           // 000000009F60: D86C53C0 47000007
	ds_read_b32 v72, v7 offset:21504                           // 000000009F68: D86C5400 48000007
	ds_read_b32 v73, v7 offset:21568                           // 000000009F70: D86C5440 49000007
	ds_read_b32 v74, v7 offset:21632                           // 000000009F78: D86C5480 4A000007
	ds_read_b32 v75, v7 offset:21696                           // 000000009F80: D86C54C0 4B000007
	ds_read_b32 v76, v7 offset:21760                           // 000000009F88: D86C5500 4C000007
	ds_read_b32 v77, v7 offset:21824                           // 000000009F90: D86C5540 4D000007
	ds_read_b32 v78, v7 offset:21888                           // 000000009F98: D86C5580 4E000007
	ds_read_b32 v79, v7 offset:21952                           // 000000009FA0: D86C55C0 4F000007
	v_mul_f32_e32 v39, v50, v39                                // 000000009FA8: 0A4E4F32
	v_mov_b32_e32 v15, v128                                    // 000000009FAC: 7E1E0380
	v_add_f32_e32 v15, v129, v15                               // 000000009FB0: 021E1F81
	v_add_f32_e32 v15, v130, v15                               // 000000009FB4: 021E1F82
	v_add_f32_e32 v15, v131, v15                               // 000000009FB8: 021E1F83
	v_add_f32_e32 v15, v132, v15                               // 000000009FBC: 021E1F84
	v_add_f32_e32 v15, v133, v15                               // 000000009FC0: 021E1F85
	v_add_f32_e32 v15, v134, v15                               // 000000009FC4: 021E1F86
	v_add_f32_e32 v15, v135, v15                               // 000000009FC8: 021E1F87
	v_add_f32_e32 v15, v136, v15                               // 000000009FCC: 021E1F88
	v_add_f32_e32 v15, v137, v15                               // 000000009FD0: 021E1F89
	v_add_f32_e32 v15, v138, v15                               // 000000009FD4: 021E1F8A
	v_add_f32_e32 v15, v139, v15                               // 000000009FD8: 021E1F8B
	v_add_f32_e32 v15, v140, v15                               // 000000009FDC: 021E1F8C
	v_add_f32_e32 v15, v141, v15                               // 000000009FE0: 021E1F8D
	v_add_f32_e32 v15, v142, v15                               // 000000009FE4: 021E1F8E
	v_add_f32_e32 v15, v143, v15                               // 000000009FE8: 021E1F8F
	v_add_f32_e32 v39, v15, v39                                // 000000009FEC: 024E4F0F
	s_waitcnt lgkmcnt(0)                                       // 000000009FF0: BF8CC07F
	v_max3_f32 v48, |v64|, |v65|, v48                          // 000000009FF4: D1D30330 04C28340
	v_max3_f32 v48, |v66|, |v67|, v48                          // 000000009FFC: D1D30330 04C28742
	v_max3_f32 v48, |v68|, |v69|, v48                          // 00000000A004: D1D30330 04C28B44
	v_max3_f32 v48, |v70|, |v71|, v48                          // 00000000A00C: D1D30330 04C28F46
	v_max3_f32 v48, |v72|, |v73|, v48                          // 00000000A014: D1D30330 04C29348
	v_max3_f32 v48, |v74|, |v75|, v48                          // 00000000A01C: D1D30330 04C2974A
	v_max3_f32 v48, |v76|, |v77|, v48                          // 00000000A024: D1D30330 04C29B4C
	v_max3_f32 v48, |v78|, |v79|, v48                          // 00000000A02C: D1D30330 04C29F4E
	s_nop 2                                                    // 00000000A034: BF800002
	v_rcp_f32_e32 v48, v48                                     // 00000000A038: 7E604530
	s_nop 1                                                    // 00000000A03C: BF800001
	v_mul_f32_e32 v48, 0x43e00000, v48                         // 00000000A040: 0A6060FF 43E00000
	v_mul_f32_e32 v128, v48, v240                              // 00000000A048: 0B01E130
	v_mul_f32_e32 v129, v48, v241                              // 00000000A04C: 0B03E330
	v_mul_f32_e32 v130, v48, v242                              // 00000000A050: 0B05E530
	v_mul_f32_e32 v131, v48, v243                              // 00000000A054: 0B07E730
	v_mul_f32_e32 v132, v48, v244                              // 00000000A058: 0B09E930
	v_mul_f32_e32 v133, v48, v245                              // 00000000A05C: 0B0BEB30
	v_mul_f32_e32 v134, v48, v246                              // 00000000A060: 0B0DED30
	v_mul_f32_e32 v135, v48, v247                              // 00000000A064: 0B0FEF30
	v_mul_f32_e32 v136, v48, v248                              // 00000000A068: 0B11F130
	v_mul_f32_e32 v137, v48, v249                              // 00000000A06C: 0B13F330
	v_mul_f32_e32 v138, v48, v250                              // 00000000A070: 0B15F530
	v_mul_f32_e32 v139, v48, v251                              // 00000000A074: 0B17F730
	v_mul_f32_e32 v140, v48, v252                              // 00000000A078: 0B19F930
	v_mul_f32_e32 v141, v48, v253                              // 00000000A07C: 0B1BFB30
	v_mul_f32_e32 v142, v48, v254                              // 00000000A080: 0B1DFD30
	v_mul_f32_e32 v143, v48, v255                              // 00000000A084: 0B1FFF30
	v_cvt_pk_fp8_f32 v128, v128, v129                          // 00000000A088: D2A20080 00030380
	v_cvt_pk_fp8_f32 v128, v130, v131 op_sel:[0,0,1]           // 00000000A090: D2A24080 00030782
	v_cvt_pk_fp8_f32 v129, v132, v133                          // 00000000A098: D2A20081 00030B84
	v_cvt_pk_fp8_f32 v129, v134, v135 op_sel:[0,0,1]           // 00000000A0A0: D2A24081 00030F86
	v_cvt_pk_fp8_f32 v130, v136, v137                          // 00000000A0A8: D2A20082 00031388
	v_cvt_pk_fp8_f32 v130, v138, v139 op_sel:[0,0,1]           // 00000000A0B0: D2A24082 0003178A
	v_cvt_pk_fp8_f32 v131, v140, v141                          // 00000000A0B8: D2A20083 00031B8C
	v_cvt_pk_fp8_f32 v131, v142, v143 op_sel:[0,0,1]           // 00000000A0C0: D2A24083 00031F8E
	ds_write_b32 v10, v128 offset:29184                        // 00000000A0C8: D81A7200 0000800A
	ds_write_b32 v10, v129 offset:30208                        // 00000000A0D0: D81A7600 0000810A
	ds_write_b32 v10, v130 offset:31232                        // 00000000A0D8: D81A7A00 0000820A
	ds_write_b32 v10, v131 offset:32256                        // 00000000A0E0: D81A7E00 0000830A
	v_add_f32_e32 v216, v216, v184                             // 00000000A0E8: 03B171D8
	v_add_f32_e32 v217, v217, v185                             // 00000000A0EC: 03B373D9
	v_add_f32_e32 v218, v218, v186                             // 00000000A0F0: 03B575DA
	v_add_f32_e32 v219, v219, v187                             // 00000000A0F4: 03B777DB
	v_add_f32_e32 v220, v220, v188                             // 00000000A0F8: 03B979DC
	v_add_f32_e32 v221, v221, v189                             // 00000000A0FC: 03BB7BDD
	v_add_f32_e32 v222, v222, v190                             // 00000000A100: 03BD7DDE
	v_add_f32_e32 v223, v223, v191                             // 00000000A104: 03BF7FDF
	v_rcp_f32_e32 v45, v48                                     // 00000000A108: 7E5A4530
	s_waitcnt lgkmcnt(0)                                       // 00000000A10C: BF8CC07F
	s_barrier                                                  // 00000000A110: BF8A0000
	ds_read_b64 v[128:129], v9 offset:29184                    // 00000000A114: D8EC7200 80000009
	ds_read_b64 v[130:131], v9 offset:29312                    // 00000000A11C: D8EC7280 82000009
	ds_read_b64 v[132:133], v9 offset:30208                    // 00000000A124: D8EC7600 84000009
	ds_read_b64 v[134:135], v9 offset:30336                    // 00000000A12C: D8EC7680 86000009
	ds_read_b64 v[136:137], v9 offset:31232                    // 00000000A134: D8EC7A00 88000009
	ds_read_b64 v[138:139], v9 offset:31360                    // 00000000A13C: D8EC7A80 8A000009
	ds_read_b64 v[140:141], v9 offset:32256                    // 00000000A144: D8EC7E00 8C000009
	ds_read_b64 v[142:143], v9 offset:32384                    // 00000000A14C: D8EC7E80 8E000009
	s_waitcnt vmcnt(15)                                        // 00000000A154: BF8C0F7F
	v_mfma_f32_16x16x32_fp8_fp8 v[176:179], a[96:97], v[112:113], 0// 00000000A158: D3F300B0 0A02E160
	v_mfma_f32_16x16x32_fp8_fp8 v[176:179], a[98:99], v[114:115], v[176:179]// 00000000A160: D3F300B0 0EC2E562
	buffer_load_dwordx4 a[80:83], v30, s[20:23], 0 offen offset:1024// 00000000A168: E05C1400 8085501E
	v_mfma_f32_16x16x32_fp8_fp8 v[176:179], a[100:101], v[116:117], v[176:179]// 00000000A170: D3F300B0 0EC2E964
	v_mfma_f32_16x16x32_fp8_fp8 v[176:179], a[102:103], v[118:119], v[176:179]// 00000000A178: D3F300B0 0EC2ED66
	v_mfma_f32_16x16x32_fp8_fp8 v[176:179], a[104:105], v[120:121], v[176:179]// 00000000A180: D3F300B0 0EC2F168
	v_mfma_f32_16x16x32_fp8_fp8 v[176:179], a[106:107], v[122:123], v[176:179]// 00000000A188: D3F300B0 0EC2F56A
	buffer_load_dwordx4 a[84:87], v31, s[20:23], 0 offen offset:1024// 00000000A190: E05C1400 8085541F
	v_mfma_f32_16x16x32_fp8_fp8 v[176:179], a[108:109], v[124:125], v[176:179]// 00000000A198: D3F300B0 0EC2F96C
	v_mfma_f32_16x16x32_fp8_fp8 v[176:179], a[110:111], v[126:127], v[176:179]// 00000000A1A0: D3F300B0 0EC2FD6E
	v_mfma_f32_16x16x32_fp8_fp8 v[180:183], a[112:113], v[112:113], 0// 00000000A1A8: D3F300B4 0A02E170
	v_mfma_f32_16x16x32_fp8_fp8 v[180:183], a[114:115], v[114:115], v[180:183]// 00000000A1B0: D3F300B4 0ED2E572
	buffer_load_dwordx4 a[88:91], v32, s[20:23], 0 offen offset:1024// 00000000A1B8: E05C1400 80855820
	v_mfma_f32_16x16x32_fp8_fp8 v[180:183], a[116:117], v[116:117], v[180:183]// 00000000A1C0: D3F300B4 0ED2E974
	v_mfma_f32_16x16x32_fp8_fp8 v[180:183], a[118:119], v[118:119], v[180:183]// 00000000A1C8: D3F300B4 0ED2ED76
	v_mfma_f32_16x16x32_fp8_fp8 v[180:183], a[120:121], v[120:121], v[180:183]// 00000000A1D0: D3F300B4 0ED2F178
	v_mfma_f32_16x16x32_fp8_fp8 v[180:183], a[122:123], v[122:123], v[180:183]// 00000000A1D8: D3F300B4 0ED2F57A
	buffer_load_dwordx4 a[92:95], v33, s[20:23], 0 offen offset:1024// 00000000A1E0: E05C1400 80855C21
	v_mfma_f32_16x16x32_fp8_fp8 v[180:183], a[124:125], v[124:125], v[180:183]// 00000000A1E8: D3F300B4 0ED2F97C
	s_lshr_b32 s57, s70, 4                                     // 00000000A1F0: 8F398446
	s_add_u32 s57, 48, s57                                     // 00000000A1F4: 803939B0
	v_mfma_f32_16x16x32_fp8_fp8 v[180:183], a[126:127], v[126:127], v[180:183]// 00000000A1F8: D3F300B4 0ED2FD7E
	s_cmp_ge_u32 s57, s73                                      // 00000000A200: BF094939
	s_cselect_b32 s56, 0, s56                                  // 00000000A204: 85383880
	v_mfma_f32_16x16x32_fp8_fp8 v[184:187], a[96:97], v[128:129], 0// 00000000A208: D3F300B8 0A030160
	v_mfma_f32_16x16x32_fp8_fp8 v[184:187], a[98:99], v[130:131], v[184:187]// 00000000A210: D3F300B8 0EE30562
	v_mfma_f32_16x16x32_fp8_fp8 v[184:187], a[100:101], v[132:133], v[184:187]// 00000000A218: D3F300B8 0EE30964
	v_mfma_f32_16x16x32_fp8_fp8 v[184:187], a[102:103], v[134:135], v[184:187]// 00000000A220: D3F300B8 0EE30D66
	v_mfma_f32_16x16x32_fp8_fp8 v[184:187], a[104:105], v[136:137], v[184:187]// 00000000A228: D3F300B8 0EE31168
	v_mfma_f32_16x16x32_fp8_fp8 v[184:187], a[106:107], v[138:139], v[184:187]// 00000000A230: D3F300B8 0EE3156A
	v_mfma_f32_16x16x32_fp8_fp8 v[184:187], a[108:109], v[140:141], v[184:187]// 00000000A238: D3F300B8 0EE3196C
	v_mfma_f32_16x16x32_fp8_fp8 v[184:187], a[110:111], v[142:143], v[184:187]// 00000000A240: D3F300B8 0EE31D6E
	v_mfma_f32_16x16x32_fp8_fp8 v[188:191], a[112:113], v[128:129], 0// 00000000A248: D3F300BC 0A030170
	v_mfma_f32_16x16x32_fp8_fp8 v[188:191], a[114:115], v[130:131], v[188:191]// 00000000A250: D3F300BC 0EF30572
	v_mfma_f32_16x16x32_fp8_fp8 v[188:191], a[116:117], v[132:133], v[188:191]// 00000000A258: D3F300BC 0EF30974
	v_mfma_f32_16x16x32_fp8_fp8 v[188:191], a[118:119], v[134:135], v[188:191]// 00000000A260: D3F300BC 0EF30D76
	v_mfma_f32_16x16x32_fp8_fp8 v[188:191], a[120:121], v[136:137], v[188:191]// 00000000A268: D3F300BC 0EF31178
	v_mfma_f32_16x16x32_fp8_fp8 v[188:191], a[122:123], v[138:139], v[188:191]// 00000000A270: D3F300BC 0EF3157A
	v_mfma_f32_16x16x32_fp8_fp8 v[188:191], a[124:125], v[140:141], v[188:191]// 00000000A278: D3F300BC 0EF3197C
	v_mfma_f32_16x16x32_fp8_fp8 v[188:191], a[126:127], v[142:143], v[188:191]// 00000000A280: D3F300BC 0EF31D7E
	v_add_u32_e32 v1, s56, v1                                  // 00000000A288: 68020238
	s_addk_i32 s70, 0x100                                      // 00000000A28C: B7460100
	s_cmp_lt_i32 s70, s71                                      // 00000000A290: BF044746
	s_cbranch_scc0 label_2027                                  // 00000000A294: BF840001
	s_branch label_15DC                                        // 00000000A298: BF82F5B5

000000000000a29c <label_2027>:
	s_nop 0                                                    // 00000000A29C: BF800000
	s_nop 0                                                    // 00000000A2A0: BF800000
	s_branch label_2A75                                        // 00000000A2A4: BF820A4B

000000000000a2a8 <label_202A>:
	s_waitcnt vmcnt(8) lgkmcnt(0)                              // 00000000A2A8: BF8C0078
	v_mul_u32_u24_dpp v64, v17, v54 row_newbcast:0 row_mask:0xf bank_mask:0xf// 00000000A2AC: 10806CFA FF015011
	v_mul_u32_u24_dpp v65, v17, v54 row_newbcast:4 row_mask:0xf bank_mask:0xf// 00000000A2B4: 10826CFA FF015411
	v_mul_u32_u24_dpp v66, v17, v54 row_newbcast:8 row_mask:0xf bank_mask:0xf// 00000000A2BC: 10846CFA FF015811
	v_mul_u32_u24_dpp v67, v17, v54 row_newbcast:12 row_mask:0xf bank_mask:0xf// 00000000A2C4: 10866CFA FF015C11
	v_add_u32_e32 v26, v64, v5                                 // 00000000A2CC: 68340B40
	v_add_u32_e32 v27, v65, v5                                 // 00000000A2D0: 68360B41
	v_add_u32_e32 v28, v66, v5                                 // 00000000A2D4: 68380B42
	v_add_u32_e32 v29, v67, v5                                 // 00000000A2D8: 683A0B43
	v_mul_u32_u24_dpp v64, v17, v63 quad_perm:[0,0,0,0] row_mask:0xf bank_mask:0xf// 00000000A2DC: 10807EFA FF000011
	v_add_u32_e32 v3, v64, v59                                 // 00000000A2E4: 68067740
	v_mul_u32_u24_dpp v64, v17, v63 quad_perm:[0,0,0,0] row_mask:0xf bank_mask:0xf// 00000000A2E8: 10807EFA FF000011
	v_add_u32_e32 v56, v64, v60                                // 00000000A2F0: 68707940
	v_mfma_f32_16x16x32_fp8_fp8 v[112:115], a[0:1], v[80:81], 0// 00000000A2F4: D3F30070 0A02A100
	buffer_load_dwordx4 a[32:35], v26, s[16:19], 0 offen       // 00000000A2FC: E05C1000 8084201A
	v_mfma_f32_16x16x32_fp8_fp8 v[112:115], a[2:3], v[82:83], v[112:115]// 00000000A304: D3F30070 0DC2A502
	v_mfma_f32_16x16x32_fp8_fp8 v[112:115], a[4:5], v[84:85], v[112:115]// 00000000A30C: D3F30070 0DC2A904
	buffer_load_dword v16, v1, s[24:27], 0 offen               // 00000000A314: E0501000 80061001
	v_mfma_f32_16x16x32_fp8_fp8 v[112:115], a[6:7], v[86:87], v[112:115]// 00000000A31C: D3F30070 0DC2AD06
	v_mfma_f32_16x16x32_fp8_fp8 v[116:119], a[8:9], v[80:81], 0// 00000000A324: D3F30074 0A02A108
	buffer_load_dwordx4 a[36:39], v26, s[16:19], 0 offen offset:1024// 00000000A32C: E05C1400 8084241A
	v_mfma_f32_16x16x32_fp8_fp8 v[116:119], a[10:11], v[82:83], v[116:119]// 00000000A334: D3F30074 0DD2A50A
	v_mfma_f32_16x16x32_fp8_fp8 v[116:119], a[12:13], v[84:85], v[116:119]// 00000000A33C: D3F30074 0DD2A90C
	v_mfma_f32_16x16x32_fp8_fp8 v[116:119], a[14:15], v[86:87], v[116:119]// 00000000A344: D3F30074 0DD2AD0E
	v_mfma_f32_16x16x32_fp8_fp8 v[120:123], a[16:17], v[80:81], 0// 00000000A34C: D3F30078 0A02A110
	buffer_load_dwordx4 a[40:43], v27, s[16:19], 0 offen       // 00000000A354: E05C1000 8084281B
	v_mfma_f32_16x16x32_fp8_fp8 v[120:123], a[18:19], v[82:83], v[120:123]// 00000000A35C: D3F30078 0DE2A512
	v_mfma_f32_16x16x32_fp8_fp8 v[120:123], a[20:21], v[84:85], v[120:123]// 00000000A364: D3F30078 0DE2A914
	v_mfma_f32_16x16x32_fp8_fp8 v[120:123], a[22:23], v[86:87], v[120:123]// 00000000A36C: D3F30078 0DE2AD16
	v_mfma_f32_16x16x32_fp8_fp8 v[124:127], a[24:25], v[80:81], 0// 00000000A374: D3F3007C 0A02A118
	buffer_load_dwordx4 a[44:47], v27, s[16:19], 0 offen offset:1024// 00000000A37C: E05C1400 80842C1B
	v_mfma_f32_16x16x32_fp8_fp8 v[124:127], a[26:27], v[82:83], v[124:127]// 00000000A384: D3F3007C 0DF2A51A
	v_mfma_f32_16x16x32_fp8_fp8 v[124:127], a[28:29], v[84:85], v[124:127]// 00000000A38C: D3F3007C 0DF2A91C
	v_mfma_f32_16x16x32_fp8_fp8 v[124:127], a[30:31], v[86:87], v[124:127]// 00000000A394: D3F3007C 0DF2AD1E
	v_mfma_f32_16x16x32_fp8_fp8 v[128:131], a[0:1], v[88:89], 0// 00000000A39C: D3F30080 0A02B100
	v_mfma_f32_16x16x32_fp8_fp8 v[128:131], a[2:3], v[90:91], v[128:131]// 00000000A3A4: D3F30080 0E02B502
	v_mfma_f32_16x16x32_fp8_fp8 v[128:131], a[4:5], v[92:93], v[128:131]// 00000000A3AC: D3F30080 0E02B904
	v_mfma_f32_16x16x32_fp8_fp8 v[128:131], a[6:7], v[94:95], v[128:131]// 00000000A3B4: D3F30080 0E02BD06
	v_mfma_f32_16x16x32_fp8_fp8 v[132:135], a[8:9], v[88:89], 0// 00000000A3BC: D3F30084 0A02B108
	v_mfma_f32_16x16x32_fp8_fp8 v[132:135], a[10:11], v[90:91], v[132:135]// 00000000A3C4: D3F30084 0E12B50A
	v_mfma_f32_16x16x32_fp8_fp8 v[132:135], a[12:13], v[92:93], v[132:135]// 00000000A3CC: D3F30084 0E12B90C
	v_mfma_f32_16x16x32_fp8_fp8 v[132:135], a[14:15], v[94:95], v[132:135]// 00000000A3D4: D3F30084 0E12BD0E
	v_mfma_f32_16x16x32_fp8_fp8 v[136:139], a[16:17], v[88:89], 0// 00000000A3DC: D3F30088 0A02B110
	v_mfma_f32_16x16x32_fp8_fp8 v[136:139], a[18:19], v[90:91], v[136:139]// 00000000A3E4: D3F30088 0E22B512
	v_mfma_f32_16x16x32_fp8_fp8 v[136:139], a[20:21], v[92:93], v[136:139]// 00000000A3EC: D3F30088 0E22B914
	v_mfma_f32_16x16x32_fp8_fp8 v[136:139], a[22:23], v[94:95], v[136:139]// 00000000A3F4: D3F30088 0E22BD16
	v_mfma_f32_16x16x32_fp8_fp8 v[140:143], a[24:25], v[88:89], 0// 00000000A3FC: D3F3008C 0A02B118
	v_mfma_f32_16x16x32_fp8_fp8 v[140:143], a[26:27], v[90:91], v[140:143]// 00000000A404: D3F3008C 0E32B51A
	v_mfma_f32_16x16x32_fp8_fp8 v[140:143], a[28:29], v[92:93], v[140:143]// 00000000A40C: D3F3008C 0E32B91C
	v_mfma_f32_16x16x32_fp8_fp8 v[140:143], a[30:31], v[94:95], v[140:143]// 00000000A414: D3F3008C 0E32BD1E
	buffer_load_dword v43, v3, s[32:35], 0 offen               // 00000000A41C: E0501000 80082B03
	v_mov_b32_dpp v64, v42 row_shr:4 row_mask:0xf bank_mask:0xf// 00000000A424: 7E8002FA FF01142A
	v_mov_b32_dpp v65, v42 row_shl:4 row_mask:0xf bank_mask:0xf// 00000000A42C: 7E8202FA FF01042A
	v_cndmask_b32_e64 v248, v42, v64, s[44:45]                 // 00000000A434: D10000F8 00B2812A
	v_cndmask_b32_e64 v249, v65, v42, s[44:45]                 // 00000000A43C: D10000F9 00B25541
	v_mov_b32_dpp v64, v248 row_shr:8 row_mask:0xf bank_mask:0xf// 00000000A444: 7E8002FA FF0118F8
	v_mov_b32_dpp v65, v248 row_shl:8 row_mask:0xf bank_mask:0xf// 00000000A44C: 7E8202FA FF0108F8
	v_mov_b32_dpp v66, v249 row_shr:8 row_mask:0xf bank_mask:0xf// 00000000A454: 7E8402FA FF0118F9
	v_mov_b32_dpp v67, v249 row_shl:8 row_mask:0xf bank_mask:0xf// 00000000A45C: 7E8602FA FF0108F9
	v_mov_b32_e32 v68, v248                                    // 00000000A464: 7E8803F8
	v_mov_b32_e32 v69, v249                                    // 00000000A468: 7E8A03F9
	v_cndmask_b32_e64 v248, v68, v64, s[42:43]                 // 00000000A46C: D10000F8 00AA8144
	v_cndmask_b32_e64 v250, v68, v65, s[78:79]                 // 00000000A474: D10000FA 013A8344
	v_cndmask_b32_e64 v249, v69, v66, s[42:43]                 // 00000000A47C: D10000F9 00AA8545
	v_cndmask_b32_e64 v251, v69, v67, s[78:79]                 // 00000000A484: D10000FB 013A8745
	v_mov_b32_dpp v64, v57 row_shr:4 row_mask:0xf bank_mask:0xf// 00000000A48C: 7E8002FA FF011439
	v_mov_b32_dpp v65, v57 row_shl:4 row_mask:0xf bank_mask:0xf// 00000000A494: 7E8202FA FF010439
	v_cndmask_b32_e64 v252, v57, v64, s[44:45]                 // 00000000A49C: D10000FC 00B28139
	v_cndmask_b32_e64 v253, v65, v57, s[44:45]                 // 00000000A4A4: D10000FD 00B27341
	v_mov_b32_dpp v64, v252 row_shr:8 row_mask:0xf bank_mask:0xf// 00000000A4AC: 7E8002FA FF0118FC
	v_mov_b32_dpp v65, v252 row_shl:8 row_mask:0xf bank_mask:0xf// 00000000A4B4: 7E8202FA FF0108FC
	v_mov_b32_dpp v66, v253 row_shr:8 row_mask:0xf bank_mask:0xf// 00000000A4BC: 7E8402FA FF0118FD
	v_mov_b32_dpp v67, v253 row_shl:8 row_mask:0xf bank_mask:0xf// 00000000A4C4: 7E8602FA FF0108FD
	v_mov_b32_e32 v68, v252                                    // 00000000A4CC: 7E8803FC
	v_mov_b32_e32 v69, v253                                    // 00000000A4D0: 7E8A03FD
	v_cndmask_b32_e64 v252, v68, v64, s[42:43]                 // 00000000A4D4: D10000FC 00AA8144
	v_cndmask_b32_e64 v254, v68, v65, s[78:79]                 // 00000000A4DC: D10000FE 013A8344
	v_cndmask_b32_e64 v253, v69, v66, s[42:43]                 // 00000000A4E4: D10000FD 00AA8545
	v_cndmask_b32_e64 v255, v69, v67, s[78:79]                 // 00000000A4EC: D10000FF 013A8745
	buffer_load_dword v58, v56, s[36:39], 0 offen              // 00000000A4F4: E0501000 80093A38
	v_mul_f32_e32 v112, v18, v112                              // 00000000A4FC: 0AE0E112
	v_mul_f32_e32 v113, v18, v113                              // 00000000A500: 0AE2E312
	v_mul_f32_e32 v114, v18, v114                              // 00000000A504: 0AE4E512
	v_mul_f32_e32 v115, v18, v115                              // 00000000A508: 0AE6E712
	v_mul_f32_e32 v116, v18, v116                              // 00000000A50C: 0AE8E912
	v_mul_f32_e32 v117, v18, v117                              // 00000000A510: 0AEAEB12
	v_mul_f32_e32 v118, v18, v118                              // 00000000A514: 0AECED12
	v_mul_f32_e32 v119, v18, v119                              // 00000000A518: 0AEEEF12
	v_mul_f32_e32 v120, v18, v120                              // 00000000A51C: 0AF0F112
	v_mul_f32_e32 v121, v18, v121                              // 00000000A520: 0AF2F312
	v_mul_f32_e32 v122, v18, v122                              // 00000000A524: 0AF4F512
	v_mul_f32_e32 v123, v18, v123                              // 00000000A528: 0AF6F712
	v_mul_f32_e32 v124, v18, v124                              // 00000000A52C: 0AF8F912
	v_mul_f32_e32 v125, v18, v125                              // 00000000A530: 0AFAFB12
	v_mul_f32_e32 v126, v18, v126                              // 00000000A534: 0AFCFD12
	v_mul_f32_e32 v127, v18, v127                              // 00000000A538: 0AFEFF12
	buffer_load_dwordx4 a[48:51], v28, s[16:19], 0 offen       // 00000000A53C: E05C1000 8084301C
	v_mul_f32_dpp v112, v248, v112 quad_perm:[0,0,0,0] row_mask:0xf bank_mask:0xf// 00000000A544: 0AE0E0FA FF0000F8
	v_mul_f32_dpp v113, v248, v113 quad_perm:[1,1,1,1] row_mask:0xf bank_mask:0xf// 00000000A54C: 0AE2E2FA FF0055F8
	v_mul_f32_dpp v114, v248, v114 quad_perm:[2,2,2,2] row_mask:0xf bank_mask:0xf// 00000000A554: 0AE4E4FA FF00AAF8
	v_mul_f32_dpp v115, v248, v115 quad_perm:[3,3,3,3] row_mask:0xf bank_mask:0xf// 00000000A55C: 0AE6E6FA FF00FFF8
	v_mul_f32_dpp v116, v249, v116 quad_perm:[0,0,0,0] row_mask:0xf bank_mask:0xf// 00000000A564: 0AE8E8FA FF0000F9
	v_mul_f32_dpp v117, v249, v117 quad_perm:[1,1,1,1] row_mask:0xf bank_mask:0xf// 00000000A56C: 0AEAEAFA FF0055F9
	v_mul_f32_dpp v118, v249, v118 quad_perm:[2,2,2,2] row_mask:0xf bank_mask:0xf// 00000000A574: 0AECECFA FF00AAF9
	v_mul_f32_dpp v119, v249, v119 quad_perm:[3,3,3,3] row_mask:0xf bank_mask:0xf// 00000000A57C: 0AEEEEFA FF00FFF9
	v_mul_f32_dpp v120, v250, v120 quad_perm:[0,0,0,0] row_mask:0xf bank_mask:0xf// 00000000A584: 0AF0F0FA FF0000FA
	v_mul_f32_dpp v121, v250, v121 quad_perm:[1,1,1,1] row_mask:0xf bank_mask:0xf// 00000000A58C: 0AF2F2FA FF0055FA
	v_mul_f32_dpp v122, v250, v122 quad_perm:[2,2,2,2] row_mask:0xf bank_mask:0xf// 00000000A594: 0AF4F4FA FF00AAFA
	v_mul_f32_dpp v123, v250, v123 quad_perm:[3,3,3,3] row_mask:0xf bank_mask:0xf// 00000000A59C: 0AF6F6FA FF00FFFA
	v_mul_f32_dpp v124, v251, v124 quad_perm:[0,0,0,0] row_mask:0xf bank_mask:0xf// 00000000A5A4: 0AF8F8FA FF0000FB
	v_mul_f32_dpp v125, v251, v125 quad_perm:[1,1,1,1] row_mask:0xf bank_mask:0xf// 00000000A5AC: 0AFAFAFA FF0055FB
	v_mul_f32_dpp v126, v251, v126 quad_perm:[2,2,2,2] row_mask:0xf bank_mask:0xf// 00000000A5B4: 0AFCFCFA FF00AAFB
	v_mul_f32_dpp v127, v251, v127 quad_perm:[3,3,3,3] row_mask:0xf bank_mask:0xf// 00000000A5BC: 0AFEFEFA FF00FFFB
	buffer_load_dwordx4 a[52:55], v28, s[16:19], 0 offen offset:1024// 00000000A5C4: E05C1400 8084341C
	s_cmp_le_i32 s90, s89                                      // 00000000A5CC: BF05595A
	s_cbranch_scc1 label_2166                                  // 00000000A5D0: BF850071
	v_mov_b32_e32 v66, 0xff800000                              // 00000000A5D4: 7E8402FF FF800000
	s_mov_b32 s60, s90                                         // 00000000A5DC: BEBC005A
	s_add_u32 s61, s89, 0xff                                   // 00000000A5E0: 803DFF59 000000FF
	v_mov_b32_e32 v64, s61                                     // 00000000A5E8: 7E80023D
	v_lshrrev_b32_e32 v240, 4, v0                              // 00000000A5EC: 21E00084
	v_mul_i32_i24_e32 v240, 4, v240                            // 00000000A5F0: 0DE1E084
	v_add_u32_e32 v240, s60, v240                              // 00000000A5F4: 69E1E03C
	s_mov_b32 s61, 0                                           // 00000000A5F8: BEBD0080
	s_mul_i32 s60, 16, s7                                      // 00000000A5FC: 923C0790
	v_sub_u32_e64 v240, v240, s61                              // 00000000A600: D13500F0 00007BF0
	v_add_u32_e32 v240, s60, v240                              // 00000000A608: 69E1E03C
	v_add_u32_e32 v241, 1, v240                                // 00000000A60C: 69E3E081
	v_add_u32_e32 v242, 2, v240                                // 00000000A610: 69E5E082
	v_add_u32_e32 v243, 3, v240                                // 00000000A614: 69E7E083
	v_cmp_le_u32_e64 s[40:41], v240, v64                       // 00000000A618: D0CB0028 000281F0
	v_add_u32_e32 v240, 64, v240                               // 00000000A620: 69E1E0C0
	s_nop 0                                                    // 00000000A624: BF800000
	v_cndmask_b32_e64 v112, v66, v112, s[40:41]                // 00000000A628: D1000070 00A2E142
	v_cmp_le_u32_e64 s[40:41], v241, v64                       // 00000000A630: D0CB0028 000281F1
	v_add_u32_e32 v241, 64, v241                               // 00000000A638: 69E3E2C0
	s_nop 0                                                    // 00000000A63C: BF800000
	v_cndmask_b32_e64 v113, v66, v113, s[40:41]                // 00000000A640: D1000071 00A2E342
	v_cmp_le_u32_e64 s[40:41], v242, v64                       // 00000000A648: D0CB0028 000281F2
	v_add_u32_e32 v242, 64, v242                               // 00000000A650: 69E5E4C0
	s_nop 0                                                    // 00000000A654: BF800000
	v_cndmask_b32_e64 v114, v66, v114, s[40:41]                // 00000000A658: D1000072 00A2E542
	v_cmp_le_u32_e64 s[40:41], v243, v64                       // 00000000A660: D0CB0028 000281F3
	v_add_u32_e32 v243, 64, v243                               // 00000000A668: 69E7E6C0
	s_nop 0                                                    // 00000000A66C: BF800000
	v_cndmask_b32_e64 v115, v66, v115, s[40:41]                // 00000000A670: D1000073 00A2E742
	v_cmp_le_u32_e64 s[40:41], v240, v64                       // 00000000A678: D0CB0028 000281F0
	v_add_u32_e32 v240, 64, v240                               // 00000000A680: 69E1E0C0
	s_nop 0                                                    // 00000000A684: BF800000
	v_cndmask_b32_e64 v116, v66, v116, s[40:41]                // 00000000A688: D1000074 00A2E942
	v_cmp_le_u32_e64 s[40:41], v241, v64                       // 00000000A690: D0CB0028 000281F1
	v_add_u32_e32 v241, 64, v241                               // 00000000A698: 69E3E2C0
	s_nop 0                                                    // 00000000A69C: BF800000
	v_cndmask_b32_e64 v117, v66, v117, s[40:41]                // 00000000A6A0: D1000075 00A2EB42
	v_cmp_le_u32_e64 s[40:41], v242, v64                       // 00000000A6A8: D0CB0028 000281F2
	v_add_u32_e32 v242, 64, v242                               // 00000000A6B0: 69E5E4C0
	s_nop 0                                                    // 00000000A6B4: BF800000
	v_cndmask_b32_e64 v118, v66, v118, s[40:41]                // 00000000A6B8: D1000076 00A2ED42
	v_cmp_le_u32_e64 s[40:41], v243, v64                       // 00000000A6C0: D0CB0028 000281F3
	v_add_u32_e32 v243, 64, v243                               // 00000000A6C8: 69E7E6C0
	s_nop 0                                                    // 00000000A6CC: BF800000
	v_cndmask_b32_e64 v119, v66, v119, s[40:41]                // 00000000A6D0: D1000077 00A2EF42
	v_cmp_le_u32_e64 s[40:41], v240, v64                       // 00000000A6D8: D0CB0028 000281F0
	v_add_u32_e32 v240, 64, v240                               // 00000000A6E0: 69E1E0C0
	s_nop 0                                                    // 00000000A6E4: BF800000
	v_cndmask_b32_e64 v120, v66, v120, s[40:41]                // 00000000A6E8: D1000078 00A2F142
	v_cmp_le_u32_e64 s[40:41], v241, v64                       // 00000000A6F0: D0CB0028 000281F1
	v_add_u32_e32 v241, 64, v241                               // 00000000A6F8: 69E3E2C0
	s_nop 0                                                    // 00000000A6FC: BF800000
	v_cndmask_b32_e64 v121, v66, v121, s[40:41]                // 00000000A700: D1000079 00A2F342
	v_cmp_le_u32_e64 s[40:41], v242, v64                       // 00000000A708: D0CB0028 000281F2
	v_add_u32_e32 v242, 64, v242                               // 00000000A710: 69E5E4C0
	s_nop 0                                                    // 00000000A714: BF800000
	v_cndmask_b32_e64 v122, v66, v122, s[40:41]                // 00000000A718: D100007A 00A2F542
	v_cmp_le_u32_e64 s[40:41], v243, v64                       // 00000000A720: D0CB0028 000281F3
	v_add_u32_e32 v243, 64, v243                               // 00000000A728: 69E7E6C0
	s_nop 0                                                    // 00000000A72C: BF800000
	v_cndmask_b32_e64 v123, v66, v123, s[40:41]                // 00000000A730: D100007B 00A2F742
	v_cmp_le_u32_e64 s[40:41], v240, v64                       // 00000000A738: D0CB0028 000281F0
	v_add_u32_e32 v240, 64, v240                               // 00000000A740: 69E1E0C0
	s_nop 0                                                    // 00000000A744: BF800000
	v_cndmask_b32_e64 v124, v66, v124, s[40:41]                // 00000000A748: D100007C 00A2F942
	v_cmp_le_u32_e64 s[40:41], v241, v64                       // 00000000A750: D0CB0028 000281F1
	v_add_u32_e32 v241, 64, v241                               // 00000000A758: 69E3E2C0
	s_nop 0                                                    // 00000000A75C: BF800000
	v_cndmask_b32_e64 v125, v66, v125, s[40:41]                // 00000000A760: D100007D 00A2FB42
	v_cmp_le_u32_e64 s[40:41], v242, v64                       // 00000000A768: D0CB0028 000281F2
	v_add_u32_e32 v242, 64, v242                               // 00000000A770: 69E5E4C0
	s_nop 0                                                    // 00000000A774: BF800000
	v_cndmask_b32_e64 v126, v66, v126, s[40:41]                // 00000000A778: D100007E 00A2FD42
	v_cmp_le_u32_e64 s[40:41], v243, v64                       // 00000000A780: D0CB0028 000281F3
	v_add_u32_e32 v243, 64, v243                               // 00000000A788: 69E7E6C0
	s_nop 0                                                    // 00000000A78C: BF800000
	v_cndmask_b32_e64 v127, v66, v127, s[40:41]                // 00000000A790: D100007F 00A2FF42

000000000000a798 <label_2166>:
	v_mov_b32_e32 v48, v112                                    // 00000000A798: 7E600370
	v_max3_f32 v48, v112, v113, v48                            // 00000000A79C: D1D30030 04C2E370
	v_max3_f32 v48, v114, v115, v48                            // 00000000A7A4: D1D30030 04C2E772
	v_max3_f32 v48, v116, v117, v48                            // 00000000A7AC: D1D30030 04C2EB74
	v_max3_f32 v48, v118, v119, v48                            // 00000000A7B4: D1D30030 04C2EF76
	v_max3_f32 v48, v120, v121, v48                            // 00000000A7BC: D1D30030 04C2F378
	v_max3_f32 v48, v122, v123, v48                            // 00000000A7C4: D1D30030 04C2F77A
	v_max3_f32 v48, v124, v125, v48                            // 00000000A7CC: D1D30030 04C2FB7C
	v_max3_f32 v48, v126, v127, v48                            // 00000000A7D4: D1D30030 04C2FF7E
	ds_write_b32 v8, v48 offset:16896                          // 00000000A7DC: D81A4200 00003008
	buffer_load_dwordx4 a[56:59], v29, s[16:19], 0 offen       // 00000000A7E4: E05C1000 8084381D
	v_mul_u32_u24_dpp v64, v17, v54 row_newbcast:1 row_mask:0xf bank_mask:0xf// 00000000A7EC: 10806CFA FF015111
	v_mul_u32_u24_dpp v65, v17, v54 row_newbcast:5 row_mask:0xf bank_mask:0xf// 00000000A7F4: 10826CFA FF015511
	v_mul_u32_u24_dpp v66, v17, v54 row_newbcast:9 row_mask:0xf bank_mask:0xf// 00000000A7FC: 10846CFA FF015911
	v_mul_u32_u24_dpp v67, v17, v54 row_newbcast:13 row_mask:0xf bank_mask:0xf// 00000000A804: 10866CFA FF015D11
	v_add_u32_e32 v34, v64, v6                                 // 00000000A80C: 68440D40
	v_add_u32_e32 v35, v65, v6                                 // 00000000A810: 68460D41
	v_add_u32_e32 v36, v66, v6                                 // 00000000A814: 68480D42
	v_add_u32_e32 v37, v67, v6                                 // 00000000A818: 684A0D43
	v_mul_f32_e32 v208, v49, v208                              // 00000000A81C: 0BA1A131
	v_mul_f32_e32 v209, v49, v209                              // 00000000A820: 0BA3A331
	v_mul_f32_e32 v210, v49, v210                              // 00000000A824: 0BA5A531
	v_mul_f32_e32 v211, v49, v211                              // 00000000A828: 0BA7A731
	v_mul_f32_e32 v212, v49, v212                              // 00000000A82C: 0BA9A931
	v_mul_f32_e32 v213, v49, v213                              // 00000000A830: 0BABAB31
	v_mul_f32_e32 v214, v49, v214                              // 00000000A834: 0BADAD31
	v_mul_f32_e32 v215, v49, v215                              // 00000000A838: 0BAFAF31
	s_waitcnt lgkmcnt(0)                                       // 00000000A83C: BF8CC07F
	s_barrier                                                  // 00000000A840: BF8A0000
	ds_read_b32 v64, v7 offset:16896                           // 00000000A844: D86C4200 40000007
	ds_read_b32 v65, v7 offset:16960                           // 00000000A84C: D86C4240 41000007
	ds_read_b32 v66, v7 offset:17024                           // 00000000A854: D86C4280 42000007
	ds_read_b32 v67, v7 offset:17088                           // 00000000A85C: D86C42C0 43000007
	ds_read_b32 v68, v7 offset:17152                           // 00000000A864: D86C4300 44000007
	ds_read_b32 v69, v7 offset:17216                           // 00000000A86C: D86C4340 45000007
	ds_read_b32 v70, v7 offset:17280                           // 00000000A874: D86C4380 46000007
	ds_read_b32 v71, v7 offset:17344                           // 00000000A87C: D86C43C0 47000007
	ds_read_b32 v72, v7 offset:17408                           // 00000000A884: D86C4400 48000007
	ds_read_b32 v73, v7 offset:17472                           // 00000000A88C: D86C4440 49000007
	ds_read_b32 v74, v7 offset:17536                           // 00000000A894: D86C4480 4A000007
	ds_read_b32 v75, v7 offset:17600                           // 00000000A89C: D86C44C0 4B000007
	ds_read_b32 v76, v7 offset:17664                           // 00000000A8A4: D86C4500 4C000007
	ds_read_b32 v77, v7 offset:17728                           // 00000000A8AC: D86C4540 4D000007
	ds_read_b32 v78, v7 offset:17792                           // 00000000A8B4: D86C4580 4E000007
	ds_read_b32 v79, v7 offset:17856                           // 00000000A8BC: D86C45C0 4F000007
	buffer_load_dwordx4 a[60:63], v29, s[16:19], 0 offen offset:1024// 00000000A8C4: E05C1400 80843C1D
	v_mul_f32_e32 v176, v44, v176                              // 00000000A8CC: 0B61612C
	v_mul_f32_e32 v177, v44, v177                              // 00000000A8D0: 0B63632C
	v_mul_f32_e32 v178, v44, v178                              // 00000000A8D4: 0B65652C
	v_mul_f32_e32 v179, v44, v179                              // 00000000A8D8: 0B67672C
	v_mul_f32_e32 v180, v44, v180                              // 00000000A8DC: 0B69692C
	v_mul_f32_e32 v181, v44, v181                              // 00000000A8E0: 0B6B6B2C
	v_mul_f32_e32 v182, v44, v182                              // 00000000A8E4: 0B6D6D2C
	v_mul_f32_e32 v183, v44, v183                              // 00000000A8E8: 0B6F6F2C
	s_waitcnt lgkmcnt(0)                                       // 00000000A8EC: BF8CC07F
	v_max3_f32 v48, v64, v65, v48                              // 00000000A8F0: D1D30030 04C28340
	v_max3_f32 v48, v66, v67, v48                              // 00000000A8F8: D1D30030 04C28742
	v_max3_f32 v48, v68, v69, v48                              // 00000000A900: D1D30030 04C28B44
	v_max3_f32 v48, v70, v71, v48                              // 00000000A908: D1D30030 04C28F46
	v_max3_f32 v48, v72, v73, v48                              // 00000000A910: D1D30030 04C29348
	v_max3_f32 v48, v74, v75, v48                              // 00000000A918: D1D30030 04C2974A
	v_max3_f32 v48, v76, v77, v48                              // 00000000A920: D1D30030 04C29B4C
	v_max3_f32 v48, v78, v79, v48                              // 00000000A928: D1D30030 04C29F4E
	buffer_load_dwordx4 a[96:99], v34, s[20:23], 0 offen       // 00000000A930: E05C1000 80856022
	v_mov_b32_e32 v64, 0xff800000                              // 00000000A938: 7E8002FF FF800000
	v_cmp_eq_u32_e64 s[40:41], v64, v11                        // 00000000A940: D0CA0028 00021740
	s_nop 1                                                    // 00000000A948: BF800001
	v_max_f32_e32 v15, v48, v11                                // 00000000A94C: 161E1730
	v_mul_f32_e32 v53, s64, v15                                // 00000000A950: 0A6A1E40
	v_fma_f32 v112, v112, s64, -v53                            // 00000000A954: D1CB0070 84D48170
	v_fma_f32 v113, v113, s64, -v53                            // 00000000A95C: D1CB0071 84D48171
	v_fma_f32 v114, v114, s64, -v53                            // 00000000A964: D1CB0072 84D48172
	v_fma_f32 v115, v115, s64, -v53                            // 00000000A96C: D1CB0073 84D48173
	v_fma_f32 v116, v116, s64, -v53                            // 00000000A974: D1CB0074 84D48174
	v_fma_f32 v117, v117, s64, -v53                            // 00000000A97C: D1CB0075 84D48175
	v_fma_f32 v118, v118, s64, -v53                            // 00000000A984: D1CB0076 84D48176
	v_fma_f32 v119, v119, s64, -v53                            // 00000000A98C: D1CB0077 84D48177
	v_fma_f32 v120, v120, s64, -v53                            // 00000000A994: D1CB0078 84D48178
	v_fma_f32 v121, v121, s64, -v53                            // 00000000A99C: D1CB0079 84D48179
	v_fma_f32 v122, v122, s64, -v53                            // 00000000A9A4: D1CB007A 84D4817A
	v_fma_f32 v123, v123, s64, -v53                            // 00000000A9AC: D1CB007B 84D4817B
	v_fma_f32 v124, v124, s64, -v53                            // 00000000A9B4: D1CB007C 84D4817C
	v_fma_f32 v125, v125, s64, -v53                            // 00000000A9BC: D1CB007D 84D4817D
	v_fma_f32 v126, v126, s64, -v53                            // 00000000A9C4: D1CB007E 84D4817E
	v_fma_f32 v127, v127, s64, -v53                            // 00000000A9CC: D1CB007F 84D4817F
	buffer_load_dwordx4 a[100:103], v35, s[20:23], 0 offen     // 00000000A9D4: E05C1000 80856423
	v_exp_f32_e32 v112, v112                                   // 00000000A9DC: 7EE04170
	v_exp_f32_e32 v113, v113                                   // 00000000A9E0: 7EE24171
	v_exp_f32_e32 v114, v114                                   // 00000000A9E4: 7EE44172
	v_exp_f32_e32 v115, v115                                   // 00000000A9E8: 7EE64173
	v_exp_f32_e32 v116, v116                                   // 00000000A9EC: 7EE84174
	v_exp_f32_e32 v117, v117                                   // 00000000A9F0: 7EEA4175
	v_exp_f32_e32 v118, v118                                   // 00000000A9F4: 7EEC4176
	v_exp_f32_e32 v119, v119                                   // 00000000A9F8: 7EEE4177
	v_exp_f32_e32 v120, v120                                   // 00000000A9FC: 7EF04178
	v_exp_f32_e32 v121, v121                                   // 00000000AA00: 7EF24179
	v_exp_f32_e32 v122, v122                                   // 00000000AA04: 7EF4417A
	v_exp_f32_e32 v123, v123                                   // 00000000AA08: 7EF6417B
	v_exp_f32_e32 v124, v124                                   // 00000000AA0C: 7EF8417C
	v_exp_f32_e32 v125, v125                                   // 00000000AA10: 7EFA417D
	v_exp_f32_e32 v126, v126                                   // 00000000AA14: 7EFC417E
	v_exp_f32_e32 v127, v127                                   // 00000000AA18: 7EFE417F
	buffer_load_dwordx4 a[104:107], v36, s[20:23], 0 offen     // 00000000AA1C: E05C1000 80856824
	v_mul_f32_dpp v240, v252, v112 quad_perm:[0,0,0,0] row_mask:0xf bank_mask:0xf// 00000000AA24: 0BE0E0FA FF0000FC
	v_mul_f32_dpp v241, v252, v113 quad_perm:[1,1,1,1] row_mask:0xf bank_mask:0xf// 00000000AA2C: 0BE2E2FA FF0055FC
	v_mul_f32_dpp v242, v252, v114 quad_perm:[2,2,2,2] row_mask:0xf bank_mask:0xf// 00000000AA34: 0BE4E4FA FF00AAFC
	v_mul_f32_dpp v243, v252, v115 quad_perm:[3,3,3,3] row_mask:0xf bank_mask:0xf// 00000000AA3C: 0BE6E6FA FF00FFFC
	v_mul_f32_dpp v244, v253, v116 quad_perm:[0,0,0,0] row_mask:0xf bank_mask:0xf// 00000000AA44: 0BE8E8FA FF0000FD
	v_mul_f32_dpp v245, v253, v117 quad_perm:[1,1,1,1] row_mask:0xf bank_mask:0xf// 00000000AA4C: 0BEAEAFA FF0055FD
	v_mul_f32_dpp v246, v253, v118 quad_perm:[2,2,2,2] row_mask:0xf bank_mask:0xf// 00000000AA54: 0BECECFA FF00AAFD
	v_mul_f32_dpp v247, v253, v119 quad_perm:[3,3,3,3] row_mask:0xf bank_mask:0xf// 00000000AA5C: 0BEEEEFA FF00FFFD
	v_mul_f32_dpp v248, v254, v120 quad_perm:[0,0,0,0] row_mask:0xf bank_mask:0xf// 00000000AA64: 0BF0F0FA FF0000FE
	v_mul_f32_dpp v249, v254, v121 quad_perm:[1,1,1,1] row_mask:0xf bank_mask:0xf// 00000000AA6C: 0BF2F2FA FF0055FE
	v_mul_f32_dpp v250, v254, v122 quad_perm:[2,2,2,2] row_mask:0xf bank_mask:0xf// 00000000AA74: 0BF4F4FA FF00AAFE
	v_mul_f32_dpp v251, v254, v123 quad_perm:[3,3,3,3] row_mask:0xf bank_mask:0xf// 00000000AA7C: 0BF6F6FA FF00FFFE
	v_mul_f32_dpp v252, v255, v124 quad_perm:[0,0,0,0] row_mask:0xf bank_mask:0xf// 00000000AA84: 0BF8F8FA FF0000FF
	v_mul_f32_dpp v253, v255, v125 quad_perm:[1,1,1,1] row_mask:0xf bank_mask:0xf// 00000000AA8C: 0BFAFAFA FF0055FF
	v_mul_f32_dpp v254, v255, v126 quad_perm:[2,2,2,2] row_mask:0xf bank_mask:0xf// 00000000AA94: 0BFCFCFA FF00AAFF
	v_mul_f32_dpp v255, v255, v127 quad_perm:[3,3,3,3] row_mask:0xf bank_mask:0xf// 00000000AA9C: 0BFEFEFA FF00FFFF
	v_mov_b32_e32 v48, 0x358637bd                              // 00000000AAA4: 7E6002FF 358637BD
	v_max3_f32 v48, |v240|, |v241|, v48                        // 00000000AAAC: D1D30330 04C3E3F0
	v_max3_f32 v48, |v242|, |v243|, v48                        // 00000000AAB4: D1D30330 04C3E7F2
	v_max3_f32 v48, |v244|, |v245|, v48                        // 00000000AABC: D1D30330 04C3EBF4
	v_max3_f32 v48, |v246|, |v247|, v48                        // 00000000AAC4: D1D30330 04C3EFF6
	v_max3_f32 v48, |v248|, |v249|, v48                        // 00000000AACC: D1D30330 04C3F3F8
	v_max3_f32 v48, |v250|, |v251|, v48                        // 00000000AAD4: D1D30330 04C3F7FA
	v_max3_f32 v48, |v252|, |v253|, v48                        // 00000000AADC: D1D30330 04C3FBFC
	v_max3_f32 v48, |v254|, |v255|, v48                        // 00000000AAE4: D1D30330 04C3FFFE
	buffer_load_dwordx4 a[108:111], v37, s[20:23], 0 offen     // 00000000AAEC: E05C1000 80856C25
	ds_write_b32 v8, v48 offset:20992                          // 00000000AAF4: D81A5200 00003008
	v_sub_f32_e32 v49, v11, v15                                // 00000000AAFC: 04621F0B
	v_cndmask_b32_e64 v49, v49, 0, s[40:41]                    // 00000000AB00: D1000031 00A10131
	v_mov_b32_e32 v11, v15                                     // 00000000AB08: 7E16030F
	v_mul_f32_e32 v49, s64, v49                                // 00000000AB0C: 0A626240
	v_exp_f32_e32 v49, v49                                     // 00000000AB10: 7E624131
	s_waitcnt lgkmcnt(0)                                       // 00000000AB14: BF8CC07F
	s_barrier                                                  // 00000000AB18: BF8A0000
	ds_read_b32 v64, v7 offset:20992                           // 00000000AB1C: D86C5200 40000007
	ds_read_b32 v65, v7 offset:21056                           // 00000000AB24: D86C5240 41000007
	ds_read_b32 v66, v7 offset:21120                           // 00000000AB2C: D86C5280 42000007
	ds_read_b32 v67, v7 offset:21184                           // 00000000AB34: D86C52C0 43000007
	ds_read_b32 v68, v7 offset:21248                           // 00000000AB3C: D86C5300 44000007
	ds_read_b32 v69, v7 offset:21312                           // 00000000AB44: D86C5340 45000007
	ds_read_b32 v70, v7 offset:21376                           // 00000000AB4C: D86C5380 46000007
	ds_read_b32 v71, v7 offset:21440                           // 00000000AB54: D86C53C0 47000007
	ds_read_b32 v72, v7 offset:21504                           // 00000000AB5C: D86C5400 48000007
	ds_read_b32 v73, v7 offset:21568                           // 00000000AB64: D86C5440 49000007
	ds_read_b32 v74, v7 offset:21632                           // 00000000AB6C: D86C5480 4A000007
	ds_read_b32 v75, v7 offset:21696                           // 00000000AB74: D86C54C0 4B000007
	ds_read_b32 v76, v7 offset:21760                           // 00000000AB7C: D86C5500 4C000007
	ds_read_b32 v77, v7 offset:21824                           // 00000000AB84: D86C5540 4D000007
	ds_read_b32 v78, v7 offset:21888                           // 00000000AB8C: D86C5580 4E000007
	ds_read_b32 v79, v7 offset:21952                           // 00000000AB94: D86C55C0 4F000007
	v_mul_f32_e32 v38, v49, v38                                // 00000000AB9C: 0A4C4D31
	v_mov_b32_e32 v15, v112                                    // 00000000ABA0: 7E1E0370
	v_add_f32_e32 v15, v113, v15                               // 00000000ABA4: 021E1F71
	v_add_f32_e32 v15, v114, v15                               // 00000000ABA8: 021E1F72
	v_add_f32_e32 v15, v115, v15                               // 00000000ABAC: 021E1F73
	v_add_f32_e32 v15, v116, v15                               // 00000000ABB0: 021E1F74
	v_add_f32_e32 v15, v117, v15                               // 00000000ABB4: 021E1F75
	v_add_f32_e32 v15, v118, v15                               // 00000000ABB8: 021E1F76
	v_add_f32_e32 v15, v119, v15                               // 00000000ABBC: 021E1F77
	v_add_f32_e32 v15, v120, v15                               // 00000000ABC0: 021E1F78
	v_add_f32_e32 v15, v121, v15                               // 00000000ABC4: 021E1F79
	v_add_f32_e32 v15, v122, v15                               // 00000000ABC8: 021E1F7A
	v_add_f32_e32 v15, v123, v15                               // 00000000ABCC: 021E1F7B
	v_add_f32_e32 v15, v124, v15                               // 00000000ABD0: 021E1F7C
	v_add_f32_e32 v15, v125, v15                               // 00000000ABD4: 021E1F7D
	v_add_f32_e32 v15, v126, v15                               // 00000000ABD8: 021E1F7E
	v_add_f32_e32 v15, v127, v15                               // 00000000ABDC: 021E1F7F
	v_add_f32_e32 v38, v15, v38                                // 00000000ABE0: 024C4D0F
	s_waitcnt lgkmcnt(0)                                       // 00000000ABE4: BF8CC07F
	v_max3_f32 v48, |v64|, |v65|, v48                          // 00000000ABE8: D1D30330 04C28340
	v_max3_f32 v48, |v66|, |v67|, v48                          // 00000000ABF0: D1D30330 04C28742
	v_max3_f32 v48, |v68|, |v69|, v48                          // 00000000ABF8: D1D30330 04C28B44
	v_max3_f32 v48, |v70|, |v71|, v48                          // 00000000AC00: D1D30330 04C28F46
	v_max3_f32 v48, |v72|, |v73|, v48                          // 00000000AC08: D1D30330 04C29348
	v_max3_f32 v48, |v74|, |v75|, v48                          // 00000000AC10: D1D30330 04C2974A
	v_max3_f32 v48, |v76|, |v77|, v48                          // 00000000AC18: D1D30330 04C29B4C
	v_max3_f32 v48, |v78|, |v79|, v48                          // 00000000AC20: D1D30330 04C29F4E
	s_nop 2                                                    // 00000000AC28: BF800002
	v_rcp_f32_e32 v48, v48                                     // 00000000AC2C: 7E604530
	s_nop 1                                                    // 00000000AC30: BF800001
	v_mul_f32_e32 v48, 0x43e00000, v48                         // 00000000AC34: 0A6060FF 43E00000
	v_mul_f32_e32 v112, v48, v240                              // 00000000AC3C: 0AE1E130
	v_mul_f32_e32 v113, v48, v241                              // 00000000AC40: 0AE3E330
	v_mul_f32_e32 v114, v48, v242                              // 00000000AC44: 0AE5E530
	v_mul_f32_e32 v115, v48, v243                              // 00000000AC48: 0AE7E730
	v_mul_f32_e32 v116, v48, v244                              // 00000000AC4C: 0AE9E930
	v_mul_f32_e32 v117, v48, v245                              // 00000000AC50: 0AEBEB30
	v_mul_f32_e32 v118, v48, v246                              // 00000000AC54: 0AEDED30
	v_mul_f32_e32 v119, v48, v247                              // 00000000AC58: 0AEFEF30
	v_mul_f32_e32 v120, v48, v248                              // 00000000AC5C: 0AF1F130
	v_mul_f32_e32 v121, v48, v249                              // 00000000AC60: 0AF3F330
	v_mul_f32_e32 v122, v48, v250                              // 00000000AC64: 0AF5F530
	v_mul_f32_e32 v123, v48, v251                              // 00000000AC68: 0AF7F730
	v_mul_f32_e32 v124, v48, v252                              // 00000000AC6C: 0AF9F930
	v_mul_f32_e32 v125, v48, v253                              // 00000000AC70: 0AFBFB30
	v_mul_f32_e32 v126, v48, v254                              // 00000000AC74: 0AFDFD30
	v_mul_f32_e32 v127, v48, v255                              // 00000000AC78: 0AFFFF30
	v_cvt_pk_fp8_f32 v112, v112, v113                          // 00000000AC7C: D2A20070 0002E370
	v_cvt_pk_fp8_f32 v112, v114, v115 op_sel:[0,0,1]           // 00000000AC84: D2A24070 0002E772
	v_cvt_pk_fp8_f32 v113, v116, v117                          // 00000000AC8C: D2A20071 0002EB74
	v_cvt_pk_fp8_f32 v113, v118, v119 op_sel:[0,0,1]           // 00000000AC94: D2A24071 0002EF76
	v_cvt_pk_fp8_f32 v114, v120, v121                          // 00000000AC9C: D2A20072 0002F378
	v_cvt_pk_fp8_f32 v114, v122, v123 op_sel:[0,0,1]           // 00000000ACA4: D2A24072 0002F77A
	v_cvt_pk_fp8_f32 v115, v124, v125                          // 00000000ACAC: D2A20073 0002FB7C
	v_cvt_pk_fp8_f32 v115, v126, v127 op_sel:[0,0,1]           // 00000000ACB4: D2A24073 0002FF7E
	ds_write_b32 v10, v112 offset:25088                        // 00000000ACBC: D81A6200 0000700A
	ds_write_b32 v10, v113 offset:26112                        // 00000000ACC4: D81A6600 0000710A
	ds_write_b32 v10, v114 offset:27136                        // 00000000ACCC: D81A6A00 0000720A
	ds_write_b32 v10, v115 offset:28160                        // 00000000ACD4: D81A6E00 0000730A
	v_add_f32_e32 v208, v208, v176                             // 00000000ACDC: 03A161D0
	v_add_f32_e32 v209, v209, v177                             // 00000000ACE0: 03A363D1
	v_add_f32_e32 v210, v210, v178                             // 00000000ACE4: 03A565D2
	v_add_f32_e32 v211, v211, v179                             // 00000000ACE8: 03A767D3
	v_add_f32_e32 v212, v212, v180                             // 00000000ACEC: 03A969D4
	v_add_f32_e32 v213, v213, v181                             // 00000000ACF0: 03AB6BD5
	v_add_f32_e32 v214, v214, v182                             // 00000000ACF4: 03AD6DD6
	v_add_f32_e32 v215, v215, v183                             // 00000000ACF8: 03AF6FD7
	v_rcp_f32_e32 v44, v48                                     // 00000000ACFC: 7E584530
	s_waitcnt lgkmcnt(0)                                       // 00000000AD00: BF8CC07F
	s_barrier                                                  // 00000000AD04: BF8A0000
	ds_read_b64 v[112:113], v9 offset:25088                    // 00000000AD08: D8EC6200 70000009
	ds_read_b64 v[114:115], v9 offset:25216                    // 00000000AD10: D8EC6280 72000009
	ds_read_b64 v[116:117], v9 offset:26112                    // 00000000AD18: D8EC6600 74000009
	ds_read_b64 v[118:119], v9 offset:26240                    // 00000000AD20: D8EC6680 76000009
	ds_read_b64 v[120:121], v9 offset:27136                    // 00000000AD28: D8EC6A00 78000009
	ds_read_b64 v[122:123], v9 offset:27264                    // 00000000AD30: D8EC6A80 7A000009
	ds_read_b64 v[124:125], v9 offset:28160                    // 00000000AD38: D8EC6E00 7C000009
	ds_read_b64 v[126:127], v9 offset:28288                    // 00000000AD40: D8EC6E80 7E000009
	v_mov_b32_dpp v64, v42 row_shr:4 row_mask:0xf bank_mask:0xf// 00000000AD48: 7E8002FA FF01142A
	v_mov_b32_dpp v65, v42 row_shl:4 row_mask:0xf bank_mask:0xf// 00000000AD50: 7E8202FA FF01042A
	v_cndmask_b32_e64 v248, v42, v64, s[44:45]                 // 00000000AD58: D10000F8 00B2812A
	v_cndmask_b32_e64 v249, v65, v42, s[44:45]                 // 00000000AD60: D10000F9 00B25541
	v_mov_b32_dpp v64, v248 row_shr:8 row_mask:0xf bank_mask:0xf// 00000000AD68: 7E8002FA FF0118F8
	v_mov_b32_dpp v65, v248 row_shl:8 row_mask:0xf bank_mask:0xf// 00000000AD70: 7E8202FA FF0108F8
	v_mov_b32_dpp v66, v249 row_shr:8 row_mask:0xf bank_mask:0xf// 00000000AD78: 7E8402FA FF0118F9
	v_mov_b32_dpp v67, v249 row_shl:8 row_mask:0xf bank_mask:0xf// 00000000AD80: 7E8602FA FF0108F9
	v_mov_b32_e32 v68, v248                                    // 00000000AD88: 7E8803F8
	v_mov_b32_e32 v69, v249                                    // 00000000AD8C: 7E8A03F9
	v_cndmask_b32_e64 v248, v68, v64, s[42:43]                 // 00000000AD90: D10000F8 00AA8144
	v_cndmask_b32_e64 v250, v68, v65, s[78:79]                 // 00000000AD98: D10000FA 013A8344
	v_cndmask_b32_e64 v249, v69, v66, s[42:43]                 // 00000000ADA0: D10000F9 00AA8545
	v_cndmask_b32_e64 v251, v69, v67, s[78:79]                 // 00000000ADA8: D10000FB 013A8745
	v_mov_b32_dpp v64, v57 row_shr:4 row_mask:0xf bank_mask:0xf// 00000000ADB0: 7E8002FA FF011439
	v_mov_b32_dpp v65, v57 row_shl:4 row_mask:0xf bank_mask:0xf// 00000000ADB8: 7E8202FA FF010439
	v_cndmask_b32_e64 v252, v57, v64, s[44:45]                 // 00000000ADC0: D10000FC 00B28139
	v_cndmask_b32_e64 v253, v65, v57, s[44:45]                 // 00000000ADC8: D10000FD 00B27341
	v_mov_b32_dpp v64, v252 row_shr:8 row_mask:0xf bank_mask:0xf// 00000000ADD0: 7E8002FA FF0118FC
	v_mov_b32_dpp v65, v252 row_shl:8 row_mask:0xf bank_mask:0xf// 00000000ADD8: 7E8202FA FF0108FC
	v_mov_b32_dpp v66, v253 row_shr:8 row_mask:0xf bank_mask:0xf// 00000000ADE0: 7E8402FA FF0118FD
	v_mov_b32_dpp v67, v253 row_shl:8 row_mask:0xf bank_mask:0xf// 00000000ADE8: 7E8602FA FF0108FD
	v_mov_b32_e32 v68, v252                                    // 00000000ADF0: 7E8803FC
	v_mov_b32_e32 v69, v253                                    // 00000000ADF4: 7E8A03FD
	v_cndmask_b32_e64 v252, v68, v64, s[42:43]                 // 00000000ADF8: D10000FC 00AA8144
	v_cndmask_b32_e64 v254, v68, v65, s[78:79]                 // 00000000AE00: D10000FE 013A8344
	v_cndmask_b32_e64 v253, v69, v66, s[42:43]                 // 00000000AE08: D10000FD 00AA8545
	v_cndmask_b32_e64 v255, v69, v67, s[78:79]                 // 00000000AE10: D10000FF 013A8745
	v_mul_f32_e32 v128, v19, v128                              // 00000000AE18: 0B010113
	v_mul_f32_e32 v129, v19, v129                              // 00000000AE1C: 0B030313
	v_mul_f32_e32 v130, v19, v130                              // 00000000AE20: 0B050513
	v_mul_f32_e32 v131, v19, v131                              // 00000000AE24: 0B070713
	v_mul_f32_e32 v132, v19, v132                              // 00000000AE28: 0B090913
	v_mul_f32_e32 v133, v19, v133                              // 00000000AE2C: 0B0B0B13
	v_mul_f32_e32 v134, v19, v134                              // 00000000AE30: 0B0D0D13
	v_mul_f32_e32 v135, v19, v135                              // 00000000AE34: 0B0F0F13
	v_mul_f32_e32 v136, v19, v136                              // 00000000AE38: 0B111113
	v_mul_f32_e32 v137, v19, v137                              // 00000000AE3C: 0B131313
	v_mul_f32_e32 v138, v19, v138                              // 00000000AE40: 0B151513
	v_mul_f32_e32 v139, v19, v139                              // 00000000AE44: 0B171713
	v_mul_f32_e32 v140, v19, v140                              // 00000000AE48: 0B191913
	v_mul_f32_e32 v141, v19, v141                              // 00000000AE4C: 0B1B1B13
	v_mul_f32_e32 v142, v19, v142                              // 00000000AE50: 0B1D1D13
	v_mul_f32_e32 v143, v19, v143                              // 00000000AE54: 0B1F1F13
	v_mul_f32_dpp v128, v248, v128 quad_perm:[0,0,0,0] row_mask:0xf bank_mask:0xf// 00000000AE58: 0B0100FA FF0000F8
	v_mul_f32_dpp v129, v248, v129 quad_perm:[1,1,1,1] row_mask:0xf bank_mask:0xf// 00000000AE60: 0B0302FA FF0055F8
	v_mul_f32_dpp v130, v248, v130 quad_perm:[2,2,2,2] row_mask:0xf bank_mask:0xf// 00000000AE68: 0B0504FA FF00AAF8
	v_mul_f32_dpp v131, v248, v131 quad_perm:[3,3,3,3] row_mask:0xf bank_mask:0xf// 00000000AE70: 0B0706FA FF00FFF8
	v_mul_f32_dpp v132, v249, v132 quad_perm:[0,0,0,0] row_mask:0xf bank_mask:0xf// 00000000AE78: 0B0908FA FF0000F9
	v_mul_f32_dpp v133, v249, v133 quad_perm:[1,1,1,1] row_mask:0xf bank_mask:0xf// 00000000AE80: 0B0B0AFA FF0055F9
	v_mul_f32_dpp v134, v249, v134 quad_perm:[2,2,2,2] row_mask:0xf bank_mask:0xf// 00000000AE88: 0B0D0CFA FF00AAF9
	v_mul_f32_dpp v135, v249, v135 quad_perm:[3,3,3,3] row_mask:0xf bank_mask:0xf// 00000000AE90: 0B0F0EFA FF00FFF9
	v_mul_f32_dpp v136, v250, v136 quad_perm:[0,0,0,0] row_mask:0xf bank_mask:0xf// 00000000AE98: 0B1110FA FF0000FA
	v_mul_f32_dpp v137, v250, v137 quad_perm:[1,1,1,1] row_mask:0xf bank_mask:0xf// 00000000AEA0: 0B1312FA FF0055FA
	v_mul_f32_dpp v138, v250, v138 quad_perm:[2,2,2,2] row_mask:0xf bank_mask:0xf// 00000000AEA8: 0B1514FA FF00AAFA
	v_mul_f32_dpp v139, v250, v139 quad_perm:[3,3,3,3] row_mask:0xf bank_mask:0xf// 00000000AEB0: 0B1716FA FF00FFFA
	v_mul_f32_dpp v140, v251, v140 quad_perm:[0,0,0,0] row_mask:0xf bank_mask:0xf// 00000000AEB8: 0B1918FA FF0000FB
	v_mul_f32_dpp v141, v251, v141 quad_perm:[1,1,1,1] row_mask:0xf bank_mask:0xf// 00000000AEC0: 0B1B1AFA FF0055FB
	v_mul_f32_dpp v142, v251, v142 quad_perm:[2,2,2,2] row_mask:0xf bank_mask:0xf// 00000000AEC8: 0B1D1CFA FF00AAFB
	v_mul_f32_dpp v143, v251, v143 quad_perm:[3,3,3,3] row_mask:0xf bank_mask:0xf// 00000000AED0: 0B1F1EFA FF00FFFB
	s_cmp_le_i32 s90, s89                                      // 00000000AED8: BF05595A
	s_cbranch_scc1 label_23A9                                  // 00000000AEDC: BF850071
	v_mov_b32_e32 v66, 0xff800000                              // 00000000AEE0: 7E8402FF FF800000
	s_mov_b32 s60, s90                                         // 00000000AEE8: BEBC005A
	s_add_u32 s61, s89, 0xff                                   // 00000000AEEC: 803DFF59 000000FF
	v_mov_b32_e32 v64, s61                                     // 00000000AEF4: 7E80023D
	v_lshrrev_b32_e32 v240, 4, v0                              // 00000000AEF8: 21E00084
	v_mul_i32_i24_e32 v240, 4, v240                            // 00000000AEFC: 0DE1E084
	v_add_u32_e32 v240, s60, v240                              // 00000000AF00: 69E1E03C
	s_mov_b32 s61, 1                                           // 00000000AF04: BEBD0081
	s_mul_i32 s60, 16, s7                                      // 00000000AF08: 923C0790
	v_sub_u32_e64 v240, v240, s61                              // 00000000AF0C: D13500F0 00007BF0
	v_add_u32_e32 v240, s60, v240                              // 00000000AF14: 69E1E03C
	v_add_u32_e32 v241, 1, v240                                // 00000000AF18: 69E3E081
	v_add_u32_e32 v242, 2, v240                                // 00000000AF1C: 69E5E082
	v_add_u32_e32 v243, 3, v240                                // 00000000AF20: 69E7E083
	v_cmp_le_u32_e64 s[40:41], v240, v64                       // 00000000AF24: D0CB0028 000281F0
	v_add_u32_e32 v240, 64, v240                               // 00000000AF2C: 69E1E0C0
	s_nop 0                                                    // 00000000AF30: BF800000
	v_cndmask_b32_e64 v128, v66, v128, s[40:41]                // 00000000AF34: D1000080 00A30142
	v_cmp_le_u32_e64 s[40:41], v241, v64                       // 00000000AF3C: D0CB0028 000281F1
	v_add_u32_e32 v241, 64, v241                               // 00000000AF44: 69E3E2C0
	s_nop 0                                                    // 00000000AF48: BF800000
	v_cndmask_b32_e64 v129, v66, v129, s[40:41]                // 00000000AF4C: D1000081 00A30342
	v_cmp_le_u32_e64 s[40:41], v242, v64                       // 00000000AF54: D0CB0028 000281F2
	v_add_u32_e32 v242, 64, v242                               // 00000000AF5C: 69E5E4C0
	s_nop 0                                                    // 00000000AF60: BF800000
	v_cndmask_b32_e64 v130, v66, v130, s[40:41]                // 00000000AF64: D1000082 00A30542
	v_cmp_le_u32_e64 s[40:41], v243, v64                       // 00000000AF6C: D0CB0028 000281F3
	v_add_u32_e32 v243, 64, v243                               // 00000000AF74: 69E7E6C0
	s_nop 0                                                    // 00000000AF78: BF800000
	v_cndmask_b32_e64 v131, v66, v131, s[40:41]                // 00000000AF7C: D1000083 00A30742
	v_cmp_le_u32_e64 s[40:41], v240, v64                       // 00000000AF84: D0CB0028 000281F0
	v_add_u32_e32 v240, 64, v240                               // 00000000AF8C: 69E1E0C0
	s_nop 0                                                    // 00000000AF90: BF800000
	v_cndmask_b32_e64 v132, v66, v132, s[40:41]                // 00000000AF94: D1000084 00A30942
	v_cmp_le_u32_e64 s[40:41], v241, v64                       // 00000000AF9C: D0CB0028 000281F1
	v_add_u32_e32 v241, 64, v241                               // 00000000AFA4: 69E3E2C0
	s_nop 0                                                    // 00000000AFA8: BF800000
	v_cndmask_b32_e64 v133, v66, v133, s[40:41]                // 00000000AFAC: D1000085 00A30B42
	v_cmp_le_u32_e64 s[40:41], v242, v64                       // 00000000AFB4: D0CB0028 000281F2
	v_add_u32_e32 v242, 64, v242                               // 00000000AFBC: 69E5E4C0
	s_nop 0                                                    // 00000000AFC0: BF800000
	v_cndmask_b32_e64 v134, v66, v134, s[40:41]                // 00000000AFC4: D1000086 00A30D42
	v_cmp_le_u32_e64 s[40:41], v243, v64                       // 00000000AFCC: D0CB0028 000281F3
	v_add_u32_e32 v243, 64, v243                               // 00000000AFD4: 69E7E6C0
	s_nop 0                                                    // 00000000AFD8: BF800000
	v_cndmask_b32_e64 v135, v66, v135, s[40:41]                // 00000000AFDC: D1000087 00A30F42
	v_cmp_le_u32_e64 s[40:41], v240, v64                       // 00000000AFE4: D0CB0028 000281F0
	v_add_u32_e32 v240, 64, v240                               // 00000000AFEC: 69E1E0C0
	s_nop 0                                                    // 00000000AFF0: BF800000
	v_cndmask_b32_e64 v136, v66, v136, s[40:41]                // 00000000AFF4: D1000088 00A31142
	v_cmp_le_u32_e64 s[40:41], v241, v64                       // 00000000AFFC: D0CB0028 000281F1
	v_add_u32_e32 v241, 64, v241                               // 00000000B004: 69E3E2C0
	s_nop 0                                                    // 00000000B008: BF800000
	v_cndmask_b32_e64 v137, v66, v137, s[40:41]                // 00000000B00C: D1000089 00A31342
	v_cmp_le_u32_e64 s[40:41], v242, v64                       // 00000000B014: D0CB0028 000281F2
	v_add_u32_e32 v242, 64, v242                               // 00000000B01C: 69E5E4C0
	s_nop 0                                                    // 00000000B020: BF800000
	v_cndmask_b32_e64 v138, v66, v138, s[40:41]                // 00000000B024: D100008A 00A31542
	v_cmp_le_u32_e64 s[40:41], v243, v64                       // 00000000B02C: D0CB0028 000281F3
	v_add_u32_e32 v243, 64, v243                               // 00000000B034: 69E7E6C0
	s_nop 0                                                    // 00000000B038: BF800000
	v_cndmask_b32_e64 v139, v66, v139, s[40:41]                // 00000000B03C: D100008B 00A31742
	v_cmp_le_u32_e64 s[40:41], v240, v64                       // 00000000B044: D0CB0028 000281F0
	v_add_u32_e32 v240, 64, v240                               // 00000000B04C: 69E1E0C0
	s_nop 0                                                    // 00000000B050: BF800000
	v_cndmask_b32_e64 v140, v66, v140, s[40:41]                // 00000000B054: D100008C 00A31942
	v_cmp_le_u32_e64 s[40:41], v241, v64                       // 00000000B05C: D0CB0028 000281F1
	v_add_u32_e32 v241, 64, v241                               // 00000000B064: 69E3E2C0
	s_nop 0                                                    // 00000000B068: BF800000
	v_cndmask_b32_e64 v141, v66, v141, s[40:41]                // 00000000B06C: D100008D 00A31B42
	v_cmp_le_u32_e64 s[40:41], v242, v64                       // 00000000B074: D0CB0028 000281F2
	v_add_u32_e32 v242, 64, v242                               // 00000000B07C: 69E5E4C0
	s_nop 0                                                    // 00000000B080: BF800000
	v_cndmask_b32_e64 v142, v66, v142, s[40:41]                // 00000000B084: D100008E 00A31D42
	v_cmp_le_u32_e64 s[40:41], v243, v64                       // 00000000B08C: D0CB0028 000281F3
	v_add_u32_e32 v243, 64, v243                               // 00000000B094: 69E7E6C0
	s_nop 0                                                    // 00000000B098: BF800000
	v_cndmask_b32_e64 v143, v66, v143, s[40:41]                // 00000000B09C: D100008F 00A31F42

000000000000b0a4 <label_23A9>:
	s_add_u32 s90, s91, s90                                    // 00000000B0A4: 805A5A5B
	v_mov_b32_e32 v48, v128                                    // 00000000B0A8: 7E600380
	v_max3_f32 v48, v128, v129, v48                            // 00000000B0AC: D1D30030 04C30380
	v_max3_f32 v48, v130, v131, v48                            // 00000000B0B4: D1D30030 04C30782
	v_max3_f32 v48, v132, v133, v48                            // 00000000B0BC: D1D30030 04C30B84
	v_max3_f32 v48, v134, v135, v48                            // 00000000B0C4: D1D30030 04C30F86
	v_max3_f32 v48, v136, v137, v48                            // 00000000B0CC: D1D30030 04C31388
	v_max3_f32 v48, v138, v139, v48                            // 00000000B0D4: D1D30030 04C3178A
	v_max3_f32 v48, v140, v141, v48                            // 00000000B0DC: D1D30030 04C31B8C
	v_max3_f32 v48, v142, v143, v48                            // 00000000B0E4: D1D30030 04C31F8E
	ds_write_b32 v8, v48 offset:16896                          // 00000000B0EC: D81A4200 00003008
	v_mul_f32_e32 v216, v50, v216                              // 00000000B0F4: 0BB1B132
	v_mul_f32_e32 v217, v50, v217                              // 00000000B0F8: 0BB3B332
	v_mul_f32_e32 v218, v50, v218                              // 00000000B0FC: 0BB5B532
	v_mul_f32_e32 v219, v50, v219                              // 00000000B100: 0BB7B732
	v_mul_f32_e32 v220, v50, v220                              // 00000000B104: 0BB9B932
	v_mul_f32_e32 v221, v50, v221                              // 00000000B108: 0BBBBB32
	v_mul_f32_e32 v222, v50, v222                              // 00000000B10C: 0BBDBD32
	v_mul_f32_e32 v223, v50, v223                              // 00000000B110: 0BBFBF32
	s_waitcnt lgkmcnt(0)                                       // 00000000B114: BF8CC07F
	s_barrier                                                  // 00000000B118: BF8A0000
	ds_read_b32 v64, v7 offset:16896                           // 00000000B11C: D86C4200 40000007
	ds_read_b32 v65, v7 offset:16960                           // 00000000B124: D86C4240 41000007
	ds_read_b32 v66, v7 offset:17024                           // 00000000B12C: D86C4280 42000007
	ds_read_b32 v67, v7 offset:17088                           // 00000000B134: D86C42C0 43000007
	ds_read_b32 v68, v7 offset:17152                           // 00000000B13C: D86C4300 44000007
	ds_read_b32 v69, v7 offset:17216                           // 00000000B144: D86C4340 45000007
	ds_read_b32 v70, v7 offset:17280                           // 00000000B14C: D86C4380 46000007
	ds_read_b32 v71, v7 offset:17344                           // 00000000B154: D86C43C0 47000007
	ds_read_b32 v72, v7 offset:17408                           // 00000000B15C: D86C4400 48000007
	ds_read_b32 v73, v7 offset:17472                           // 00000000B164: D86C4440 49000007
	ds_read_b32 v74, v7 offset:17536                           // 00000000B16C: D86C4480 4A000007
	ds_read_b32 v75, v7 offset:17600                           // 00000000B174: D86C44C0 4B000007
	ds_read_b32 v76, v7 offset:17664                           // 00000000B17C: D86C4500 4C000007
	ds_read_b32 v77, v7 offset:17728                           // 00000000B184: D86C4540 4D000007
	ds_read_b32 v78, v7 offset:17792                           // 00000000B18C: D86C4580 4E000007
	ds_read_b32 v79, v7 offset:17856                           // 00000000B194: D86C45C0 4F000007
	v_mul_f32_e32 v184, v45, v184                              // 00000000B19C: 0B71712D
	v_mul_f32_e32 v185, v45, v185                              // 00000000B1A0: 0B73732D
	v_mul_f32_e32 v186, v45, v186                              // 00000000B1A4: 0B75752D
	v_mul_f32_e32 v187, v45, v187                              // 00000000B1A8: 0B77772D
	v_mul_f32_e32 v188, v45, v188                              // 00000000B1AC: 0B79792D
	v_mul_f32_e32 v189, v45, v189                              // 00000000B1B0: 0B7B7B2D
	v_mul_f32_e32 v190, v45, v190                              // 00000000B1B4: 0B7D7D2D
	v_mul_f32_e32 v191, v45, v191                              // 00000000B1B8: 0B7F7F2D
	s_waitcnt lgkmcnt(0)                                       // 00000000B1BC: BF8CC07F
	v_max3_f32 v48, v64, v65, v48                              // 00000000B1C0: D1D30030 04C28340
	v_max3_f32 v48, v66, v67, v48                              // 00000000B1C8: D1D30030 04C28742
	v_max3_f32 v48, v68, v69, v48                              // 00000000B1D0: D1D30030 04C28B44
	v_max3_f32 v48, v70, v71, v48                              // 00000000B1D8: D1D30030 04C28F46
	v_max3_f32 v48, v72, v73, v48                              // 00000000B1E0: D1D30030 04C29348
	v_max3_f32 v48, v74, v75, v48                              // 00000000B1E8: D1D30030 04C2974A
	v_max3_f32 v48, v76, v77, v48                              // 00000000B1F0: D1D30030 04C29B4C
	v_max3_f32 v48, v78, v79, v48                              // 00000000B1F8: D1D30030 04C29F4E
	v_mov_b32_e32 v64, 0xff800000                              // 00000000B200: 7E8002FF FF800000
	v_cmp_eq_u32_e64 s[40:41], v64, v12                        // 00000000B208: D0CA0028 00021940
	s_nop 1                                                    // 00000000B210: BF800001
	v_max_f32_e32 v15, v48, v12                                // 00000000B214: 161E1930
	v_mul_f32_e32 v53, s64, v15                                // 00000000B218: 0A6A1E40
	v_fma_f32 v128, v128, s64, -v53                            // 00000000B21C: D1CB0080 84D48180
	v_fma_f32 v129, v129, s64, -v53                            // 00000000B224: D1CB0081 84D48181
	v_fma_f32 v130, v130, s64, -v53                            // 00000000B22C: D1CB0082 84D48182
	v_fma_f32 v131, v131, s64, -v53                            // 00000000B234: D1CB0083 84D48183
	v_fma_f32 v132, v132, s64, -v53                            // 00000000B23C: D1CB0084 84D48184
	v_fma_f32 v133, v133, s64, -v53                            // 00000000B244: D1CB0085 84D48185
	v_fma_f32 v134, v134, s64, -v53                            // 00000000B24C: D1CB0086 84D48186
	v_fma_f32 v135, v135, s64, -v53                            // 00000000B254: D1CB0087 84D48187
	v_fma_f32 v136, v136, s64, -v53                            // 00000000B25C: D1CB0088 84D48188
	v_fma_f32 v137, v137, s64, -v53                            // 00000000B264: D1CB0089 84D48189
	v_fma_f32 v138, v138, s64, -v53                            // 00000000B26C: D1CB008A 84D4818A
	v_fma_f32 v139, v139, s64, -v53                            // 00000000B274: D1CB008B 84D4818B
	v_fma_f32 v140, v140, s64, -v53                            // 00000000B27C: D1CB008C 84D4818C
	v_fma_f32 v141, v141, s64, -v53                            // 00000000B284: D1CB008D 84D4818D
	v_fma_f32 v142, v142, s64, -v53                            // 00000000B28C: D1CB008E 84D4818E
	v_fma_f32 v143, v143, s64, -v53                            // 00000000B294: D1CB008F 84D4818F
	v_exp_f32_e32 v128, v128                                   // 00000000B29C: 7F004180
	v_exp_f32_e32 v129, v129                                   // 00000000B2A0: 7F024181
	v_exp_f32_e32 v130, v130                                   // 00000000B2A4: 7F044182
	v_exp_f32_e32 v131, v131                                   // 00000000B2A8: 7F064183
	v_exp_f32_e32 v132, v132                                   // 00000000B2AC: 7F084184
	v_exp_f32_e32 v133, v133                                   // 00000000B2B0: 7F0A4185
	v_exp_f32_e32 v134, v134                                   // 00000000B2B4: 7F0C4186
	v_exp_f32_e32 v135, v135                                   // 00000000B2B8: 7F0E4187
	v_exp_f32_e32 v136, v136                                   // 00000000B2BC: 7F104188
	v_exp_f32_e32 v137, v137                                   // 00000000B2C0: 7F124189
	v_exp_f32_e32 v138, v138                                   // 00000000B2C4: 7F14418A
	v_exp_f32_e32 v139, v139                                   // 00000000B2C8: 7F16418B
	v_exp_f32_e32 v140, v140                                   // 00000000B2CC: 7F18418C
	v_exp_f32_e32 v141, v141                                   // 00000000B2D0: 7F1A418D
	v_exp_f32_e32 v142, v142                                   // 00000000B2D4: 7F1C418E
	v_exp_f32_e32 v143, v143                                   // 00000000B2D8: 7F1E418F
	v_mul_f32_dpp v240, v252, v128 quad_perm:[0,0,0,0] row_mask:0xf bank_mask:0xf// 00000000B2DC: 0BE100FA FF0000FC
	v_mul_f32_dpp v241, v252, v129 quad_perm:[1,1,1,1] row_mask:0xf bank_mask:0xf// 00000000B2E4: 0BE302FA FF0055FC
	v_mul_f32_dpp v242, v252, v130 quad_perm:[2,2,2,2] row_mask:0xf bank_mask:0xf// 00000000B2EC: 0BE504FA FF00AAFC
	v_mul_f32_dpp v243, v252, v131 quad_perm:[3,3,3,3] row_mask:0xf bank_mask:0xf// 00000000B2F4: 0BE706FA FF00FFFC
	v_mul_f32_dpp v244, v253, v132 quad_perm:[0,0,0,0] row_mask:0xf bank_mask:0xf// 00000000B2FC: 0BE908FA FF0000FD
	v_mul_f32_dpp v245, v253, v133 quad_perm:[1,1,1,1] row_mask:0xf bank_mask:0xf// 00000000B304: 0BEB0AFA FF0055FD
	v_mul_f32_dpp v246, v253, v134 quad_perm:[2,2,2,2] row_mask:0xf bank_mask:0xf// 00000000B30C: 0BED0CFA FF00AAFD
	v_mul_f32_dpp v247, v253, v135 quad_perm:[3,3,3,3] row_mask:0xf bank_mask:0xf// 00000000B314: 0BEF0EFA FF00FFFD
	v_mul_f32_dpp v248, v254, v136 quad_perm:[0,0,0,0] row_mask:0xf bank_mask:0xf// 00000000B31C: 0BF110FA FF0000FE
	v_mul_f32_dpp v249, v254, v137 quad_perm:[1,1,1,1] row_mask:0xf bank_mask:0xf// 00000000B324: 0BF312FA FF0055FE
	v_mul_f32_dpp v250, v254, v138 quad_perm:[2,2,2,2] row_mask:0xf bank_mask:0xf// 00000000B32C: 0BF514FA FF00AAFE
	v_mul_f32_dpp v251, v254, v139 quad_perm:[3,3,3,3] row_mask:0xf bank_mask:0xf// 00000000B334: 0BF716FA FF00FFFE
	v_mul_f32_dpp v252, v255, v140 quad_perm:[0,0,0,0] row_mask:0xf bank_mask:0xf// 00000000B33C: 0BF918FA FF0000FF
	v_mul_f32_dpp v253, v255, v141 quad_perm:[1,1,1,1] row_mask:0xf bank_mask:0xf// 00000000B344: 0BFB1AFA FF0055FF
	v_mul_f32_dpp v254, v255, v142 quad_perm:[2,2,2,2] row_mask:0xf bank_mask:0xf// 00000000B34C: 0BFD1CFA FF00AAFF
	v_mul_f32_dpp v255, v255, v143 quad_perm:[3,3,3,3] row_mask:0xf bank_mask:0xf// 00000000B354: 0BFF1EFA FF00FFFF
	v_mov_b32_e32 v48, 0x358637bd                              // 00000000B35C: 7E6002FF 358637BD
	v_max3_f32 v48, |v240|, |v241|, v48                        // 00000000B364: D1D30330 04C3E3F0
	v_max3_f32 v48, |v242|, |v243|, v48                        // 00000000B36C: D1D30330 04C3E7F2
	v_max3_f32 v48, |v244|, |v245|, v48                        // 00000000B374: D1D30330 04C3EBF4
	v_max3_f32 v48, |v246|, |v247|, v48                        // 00000000B37C: D1D30330 04C3EFF6
	v_max3_f32 v48, |v248|, |v249|, v48                        // 00000000B384: D1D30330 04C3F3F8
	v_max3_f32 v48, |v250|, |v251|, v48                        // 00000000B38C: D1D30330 04C3F7FA
	v_max3_f32 v48, |v252|, |v253|, v48                        // 00000000B394: D1D30330 04C3FBFC
	v_max3_f32 v48, |v254|, |v255|, v48                        // 00000000B39C: D1D30330 04C3FFFE
	ds_write_b32 v8, v48 offset:20992                          // 00000000B3A4: D81A5200 00003008
	v_sub_f32_e32 v50, v12, v15                                // 00000000B3AC: 04641F0C
	v_cndmask_b32_e64 v50, v50, 0, s[40:41]                    // 00000000B3B0: D1000032 00A10132
	v_mov_b32_e32 v12, v15                                     // 00000000B3B8: 7E18030F
	v_mul_f32_e32 v50, s64, v50                                // 00000000B3BC: 0A646440
	v_exp_f32_e32 v50, v50                                     // 00000000B3C0: 7E644132
	s_waitcnt lgkmcnt(0)                                       // 00000000B3C4: BF8CC07F
	s_barrier                                                  // 00000000B3C8: BF8A0000
	ds_read_b32 v64, v7 offset:20992                           // 00000000B3CC: D86C5200 40000007
	ds_read_b32 v65, v7 offset:21056                           // 00000000B3D4: D86C5240 41000007
	ds_read_b32 v66, v7 offset:21120                           // 00000000B3DC: D86C5280 42000007
	ds_read_b32 v67, v7 offset:21184                           // 00000000B3E4: D86C52C0 43000007
	ds_read_b32 v68, v7 offset:21248                           // 00000000B3EC: D86C5300 44000007
	ds_read_b32 v69, v7 offset:21312                           // 00000000B3F4: D86C5340 45000007
	ds_read_b32 v70, v7 offset:21376                           // 00000000B3FC: D86C5380 46000007
	ds_read_b32 v71, v7 offset:21440                           // 00000000B404: D86C53C0 47000007
	ds_read_b32 v72, v7 offset:21504                           // 00000000B40C: D86C5400 48000007
	ds_read_b32 v73, v7 offset:21568                           // 00000000B414: D86C5440 49000007
	ds_read_b32 v74, v7 offset:21632                           // 00000000B41C: D86C5480 4A000007
	ds_read_b32 v75, v7 offset:21696                           // 00000000B424: D86C54C0 4B000007
	ds_read_b32 v76, v7 offset:21760                           // 00000000B42C: D86C5500 4C000007
	ds_read_b32 v77, v7 offset:21824                           // 00000000B434: D86C5540 4D000007
	ds_read_b32 v78, v7 offset:21888                           // 00000000B43C: D86C5580 4E000007
	ds_read_b32 v79, v7 offset:21952                           // 00000000B444: D86C55C0 4F000007
	v_mul_f32_e32 v39, v50, v39                                // 00000000B44C: 0A4E4F32
	v_mov_b32_e32 v15, v128                                    // 00000000B450: 7E1E0380
	v_add_f32_e32 v15, v129, v15                               // 00000000B454: 021E1F81
	v_add_f32_e32 v15, v130, v15                               // 00000000B458: 021E1F82
	v_add_f32_e32 v15, v131, v15                               // 00000000B45C: 021E1F83
	v_add_f32_e32 v15, v132, v15                               // 00000000B460: 021E1F84
	v_add_f32_e32 v15, v133, v15                               // 00000000B464: 021E1F85
	v_add_f32_e32 v15, v134, v15                               // 00000000B468: 021E1F86
	v_add_f32_e32 v15, v135, v15                               // 00000000B46C: 021E1F87
	v_add_f32_e32 v15, v136, v15                               // 00000000B470: 021E1F88
	v_add_f32_e32 v15, v137, v15                               // 00000000B474: 021E1F89
	v_add_f32_e32 v15, v138, v15                               // 00000000B478: 021E1F8A
	v_add_f32_e32 v15, v139, v15                               // 00000000B47C: 021E1F8B
	v_add_f32_e32 v15, v140, v15                               // 00000000B480: 021E1F8C
	v_add_f32_e32 v15, v141, v15                               // 00000000B484: 021E1F8D
	v_add_f32_e32 v15, v142, v15                               // 00000000B488: 021E1F8E
	v_add_f32_e32 v15, v143, v15                               // 00000000B48C: 021E1F8F
	v_add_f32_e32 v39, v15, v39                                // 00000000B490: 024E4F0F
	s_waitcnt lgkmcnt(0)                                       // 00000000B494: BF8CC07F
	v_max3_f32 v48, |v64|, |v65|, v48                          // 00000000B498: D1D30330 04C28340
	v_max3_f32 v48, |v66|, |v67|, v48                          // 00000000B4A0: D1D30330 04C28742
	v_max3_f32 v48, |v68|, |v69|, v48                          // 00000000B4A8: D1D30330 04C28B44
	v_max3_f32 v48, |v70|, |v71|, v48                          // 00000000B4B0: D1D30330 04C28F46
	v_max3_f32 v48, |v72|, |v73|, v48                          // 00000000B4B8: D1D30330 04C29348
	v_max3_f32 v48, |v74|, |v75|, v48                          // 00000000B4C0: D1D30330 04C2974A
	v_max3_f32 v48, |v76|, |v77|, v48                          // 00000000B4C8: D1D30330 04C29B4C
	v_max3_f32 v48, |v78|, |v79|, v48                          // 00000000B4D0: D1D30330 04C29F4E
	s_nop 2                                                    // 00000000B4D8: BF800002
	v_rcp_f32_e32 v48, v48                                     // 00000000B4DC: 7E604530
	s_nop 1                                                    // 00000000B4E0: BF800001
	v_mul_f32_e32 v48, 0x43e00000, v48                         // 00000000B4E4: 0A6060FF 43E00000
	v_mul_f32_e32 v128, v48, v240                              // 00000000B4EC: 0B01E130
	v_mul_f32_e32 v129, v48, v241                              // 00000000B4F0: 0B03E330
	v_mul_f32_e32 v130, v48, v242                              // 00000000B4F4: 0B05E530
	v_mul_f32_e32 v131, v48, v243                              // 00000000B4F8: 0B07E730
	v_mul_f32_e32 v132, v48, v244                              // 00000000B4FC: 0B09E930
	v_mul_f32_e32 v133, v48, v245                              // 00000000B500: 0B0BEB30
	v_mul_f32_e32 v134, v48, v246                              // 00000000B504: 0B0DED30
	v_mul_f32_e32 v135, v48, v247                              // 00000000B508: 0B0FEF30
	v_mul_f32_e32 v136, v48, v248                              // 00000000B50C: 0B11F130
	v_mul_f32_e32 v137, v48, v249                              // 00000000B510: 0B13F330
	v_mul_f32_e32 v138, v48, v250                              // 00000000B514: 0B15F530
	v_mul_f32_e32 v139, v48, v251                              // 00000000B518: 0B17F730
	v_mul_f32_e32 v140, v48, v252                              // 00000000B51C: 0B19F930
	v_mul_f32_e32 v141, v48, v253                              // 00000000B520: 0B1BFB30
	v_mul_f32_e32 v142, v48, v254                              // 00000000B524: 0B1DFD30
	v_mul_f32_e32 v143, v48, v255                              // 00000000B528: 0B1FFF30
	v_cvt_pk_fp8_f32 v128, v128, v129                          // 00000000B52C: D2A20080 00030380
	v_cvt_pk_fp8_f32 v128, v130, v131 op_sel:[0,0,1]           // 00000000B534: D2A24080 00030782
	v_cvt_pk_fp8_f32 v129, v132, v133                          // 00000000B53C: D2A20081 00030B84
	v_cvt_pk_fp8_f32 v129, v134, v135 op_sel:[0,0,1]           // 00000000B544: D2A24081 00030F86
	v_cvt_pk_fp8_f32 v130, v136, v137                          // 00000000B54C: D2A20082 00031388
	v_cvt_pk_fp8_f32 v130, v138, v139 op_sel:[0,0,1]           // 00000000B554: D2A24082 0003178A
	v_cvt_pk_fp8_f32 v131, v140, v141                          // 00000000B55C: D2A20083 00031B8C
	v_cvt_pk_fp8_f32 v131, v142, v143 op_sel:[0,0,1]           // 00000000B564: D2A24083 00031F8E
	ds_write_b32 v10, v128 offset:29184                        // 00000000B56C: D81A7200 0000800A
	ds_write_b32 v10, v129 offset:30208                        // 00000000B574: D81A7600 0000810A
	ds_write_b32 v10, v130 offset:31232                        // 00000000B57C: D81A7A00 0000820A
	ds_write_b32 v10, v131 offset:32256                        // 00000000B584: D81A7E00 0000830A
	v_add_f32_e32 v216, v216, v184                             // 00000000B58C: 03B171D8
	v_add_f32_e32 v217, v217, v185                             // 00000000B590: 03B373D9
	v_add_f32_e32 v218, v218, v186                             // 00000000B594: 03B575DA
	v_add_f32_e32 v219, v219, v187                             // 00000000B598: 03B777DB
	v_add_f32_e32 v220, v220, v188                             // 00000000B59C: 03B979DC
	v_add_f32_e32 v221, v221, v189                             // 00000000B5A0: 03BB7BDD
	v_add_f32_e32 v222, v222, v190                             // 00000000B5A4: 03BD7DDE
	v_add_f32_e32 v223, v223, v191                             // 00000000B5A8: 03BF7FDF
	v_rcp_f32_e32 v45, v48                                     // 00000000B5AC: 7E5A4530
	s_waitcnt lgkmcnt(0)                                       // 00000000B5B0: BF8CC07F
	s_barrier                                                  // 00000000B5B4: BF8A0000
	ds_read_b64 v[128:129], v9 offset:29184                    // 00000000B5B8: D8EC7200 80000009
	ds_read_b64 v[130:131], v9 offset:29312                    // 00000000B5C0: D8EC7280 82000009
	ds_read_b64 v[132:133], v9 offset:30208                    // 00000000B5C8: D8EC7600 84000009
	ds_read_b64 v[134:135], v9 offset:30336                    // 00000000B5D0: D8EC7680 86000009
	ds_read_b64 v[136:137], v9 offset:31232                    // 00000000B5D8: D8EC7A00 88000009
	ds_read_b64 v[138:139], v9 offset:31360                    // 00000000B5E0: D8EC7A80 8A000009
	ds_read_b64 v[140:141], v9 offset:32256                    // 00000000B5E8: D8EC7E00 8C000009
	ds_read_b64 v[142:143], v9 offset:32384                    // 00000000B5F0: D8EC7E80 8E000009
	s_waitcnt vmcnt(15)                                        // 00000000B5F8: BF8C0F7F
	v_mfma_f32_16x16x32_fp8_fp8 v[176:179], a[64:65], v[112:113], 0// 00000000B5FC: D3F300B0 0A02E140
	buffer_load_dwordx4 a[112:115], v34, s[20:23], 0 offen offset:1024// 00000000B604: E05C1400 80857022
	v_mfma_f32_16x16x32_fp8_fp8 v[176:179], a[66:67], v[114:115], v[176:179]// 00000000B60C: D3F300B0 0EC2E542
	v_mfma_f32_16x16x32_fp8_fp8 v[176:179], a[68:69], v[116:117], v[176:179]// 00000000B614: D3F300B0 0EC2E944
	v_mfma_f32_16x16x32_fp8_fp8 v[176:179], a[70:71], v[118:119], v[176:179]// 00000000B61C: D3F300B0 0EC2ED46
	v_mfma_f32_16x16x32_fp8_fp8 v[176:179], a[72:73], v[120:121], v[176:179]// 00000000B624: D3F300B0 0EC2F148
	buffer_load_dwordx4 a[116:119], v35, s[20:23], 0 offen offset:1024// 00000000B62C: E05C1400 80857423
	v_mfma_f32_16x16x32_fp8_fp8 v[176:179], a[74:75], v[122:123], v[176:179]// 00000000B634: D3F300B0 0EC2F54A
	v_mfma_f32_16x16x32_fp8_fp8 v[176:179], a[76:77], v[124:125], v[176:179]// 00000000B63C: D3F300B0 0EC2F94C
	v_mfma_f32_16x16x32_fp8_fp8 v[176:179], a[78:79], v[126:127], v[176:179]// 00000000B644: D3F300B0 0EC2FD4E
	v_mfma_f32_16x16x32_fp8_fp8 v[180:183], a[80:81], v[112:113], 0// 00000000B64C: D3F300B4 0A02E150
	buffer_load_dwordx4 a[120:123], v36, s[20:23], 0 offen offset:1024// 00000000B654: E05C1400 80857824
	v_mfma_f32_16x16x32_fp8_fp8 v[180:183], a[82:83], v[114:115], v[180:183]// 00000000B65C: D3F300B4 0ED2E552
	v_mfma_f32_16x16x32_fp8_fp8 v[180:183], a[84:85], v[116:117], v[180:183]// 00000000B664: D3F300B4 0ED2E954
	v_mfma_f32_16x16x32_fp8_fp8 v[180:183], a[86:87], v[118:119], v[180:183]// 00000000B66C: D3F300B4 0ED2ED56
	v_mfma_f32_16x16x32_fp8_fp8 v[180:183], a[88:89], v[120:121], v[180:183]// 00000000B674: D3F300B4 0ED2F158
	buffer_load_dwordx4 a[124:127], v37, s[20:23], 0 offen offset:1024// 00000000B67C: E05C1400 80857C25
	v_mfma_f32_16x16x32_fp8_fp8 v[180:183], a[90:91], v[122:123], v[180:183]// 00000000B684: D3F300B4 0ED2F55A
	v_mfma_f32_16x16x32_fp8_fp8 v[180:183], a[92:93], v[124:125], v[180:183]// 00000000B68C: D3F300B4 0ED2F95C
	s_lshr_b32 s57, s70, 4                                     // 00000000B694: 8F398446
	s_add_u32 s57, 48, s57                                     // 00000000B698: 803939B0
	v_mfma_f32_16x16x32_fp8_fp8 v[180:183], a[94:95], v[126:127], v[180:183]// 00000000B69C: D3F300B4 0ED2FD5E
	s_cmp_ge_u32 s57, s73                                      // 00000000B6A4: BF094939
	s_cselect_b32 s56, 0, s56                                  // 00000000B6A8: 85383880
	v_mfma_f32_16x16x32_fp8_fp8 v[184:187], a[64:65], v[128:129], 0// 00000000B6AC: D3F300B8 0A030140
	v_mfma_f32_16x16x32_fp8_fp8 v[184:187], a[66:67], v[130:131], v[184:187]// 00000000B6B4: D3F300B8 0EE30542
	v_mfma_f32_16x16x32_fp8_fp8 v[184:187], a[68:69], v[132:133], v[184:187]// 00000000B6BC: D3F300B8 0EE30944
	v_mfma_f32_16x16x32_fp8_fp8 v[184:187], a[70:71], v[134:135], v[184:187]// 00000000B6C4: D3F300B8 0EE30D46
	v_mfma_f32_16x16x32_fp8_fp8 v[184:187], a[72:73], v[136:137], v[184:187]// 00000000B6CC: D3F300B8 0EE31148
	v_mfma_f32_16x16x32_fp8_fp8 v[184:187], a[74:75], v[138:139], v[184:187]// 00000000B6D4: D3F300B8 0EE3154A
	v_mfma_f32_16x16x32_fp8_fp8 v[184:187], a[76:77], v[140:141], v[184:187]// 00000000B6DC: D3F300B8 0EE3194C
	v_mfma_f32_16x16x32_fp8_fp8 v[184:187], a[78:79], v[142:143], v[184:187]// 00000000B6E4: D3F300B8 0EE31D4E
	v_mfma_f32_16x16x32_fp8_fp8 v[188:191], a[80:81], v[128:129], 0// 00000000B6EC: D3F300BC 0A030150
	v_mfma_f32_16x16x32_fp8_fp8 v[188:191], a[82:83], v[130:131], v[188:191]// 00000000B6F4: D3F300BC 0EF30552
	v_mfma_f32_16x16x32_fp8_fp8 v[188:191], a[84:85], v[132:133], v[188:191]// 00000000B6FC: D3F300BC 0EF30954
	v_mfma_f32_16x16x32_fp8_fp8 v[188:191], a[86:87], v[134:135], v[188:191]// 00000000B704: D3F300BC 0EF30D56
	v_mfma_f32_16x16x32_fp8_fp8 v[188:191], a[88:89], v[136:137], v[188:191]// 00000000B70C: D3F300BC 0EF31158
	v_mfma_f32_16x16x32_fp8_fp8 v[188:191], a[90:91], v[138:139], v[188:191]// 00000000B714: D3F300BC 0EF3155A
	v_mfma_f32_16x16x32_fp8_fp8 v[188:191], a[92:93], v[140:141], v[188:191]// 00000000B71C: D3F300BC 0EF3195C
	v_mfma_f32_16x16x32_fp8_fp8 v[188:191], a[94:95], v[142:143], v[188:191]// 00000000B724: D3F300BC 0EF31D5E
	v_add_u32_e32 v1, s56, v1                                  // 00000000B72C: 68020238
	s_addk_i32 s70, 0x100                                      // 00000000B730: B7460100
	s_cmp_lt_i32 s70, s71                                      // 00000000B734: BF044746
	s_cbranch_scc0 label_2027                                  // 00000000B738: BF84FAD8
	s_waitcnt vmcnt(8) lgkmcnt(0)                              // 00000000B73C: BF8C0078
	v_mul_u32_u24_dpp v64, v16, v54 row_newbcast:0 row_mask:0xf bank_mask:0xf// 00000000B740: 10806CFA FF015010
	v_mul_u32_u24_dpp v65, v16, v54 row_newbcast:4 row_mask:0xf bank_mask:0xf// 00000000B748: 10826CFA FF015410
	v_mul_u32_u24_dpp v66, v16, v54 row_newbcast:8 row_mask:0xf bank_mask:0xf// 00000000B750: 10846CFA FF015810
	v_mul_u32_u24_dpp v67, v16, v54 row_newbcast:12 row_mask:0xf bank_mask:0xf// 00000000B758: 10866CFA FF015C10
	v_add_u32_e32 v22, v64, v5                                 // 00000000B760: 682C0B40
	v_add_u32_e32 v23, v65, v5                                 // 00000000B764: 682E0B41
	v_add_u32_e32 v24, v66, v5                                 // 00000000B768: 68300B42
	v_add_u32_e32 v25, v67, v5                                 // 00000000B76C: 68320B43
	v_mul_u32_u24_dpp v64, v16, v63 quad_perm:[0,0,0,0] row_mask:0xf bank_mask:0xf// 00000000B770: 10807EFA FF000010
	v_add_u32_e32 v2, v64, v59                                 // 00000000B778: 68047740
	v_mul_u32_u24_dpp v64, v16, v63 quad_perm:[0,0,0,0] row_mask:0xf bank_mask:0xf// 00000000B77C: 10807EFA FF000010
	v_add_u32_e32 v55, v64, v60                                // 00000000B784: 686E7940
	v_mfma_f32_16x16x32_fp8_fp8 v[112:115], a[32:33], v[80:81], 0// 00000000B788: D3F30070 0A02A120
	buffer_load_dwordx4 a[0:3], v22, s[16:19], 0 offen         // 00000000B790: E05C1000 80840016
	v_mfma_f32_16x16x32_fp8_fp8 v[112:115], a[34:35], v[82:83], v[112:115]// 00000000B798: D3F30070 0DC2A522
	v_mfma_f32_16x16x32_fp8_fp8 v[112:115], a[36:37], v[84:85], v[112:115]// 00000000B7A0: D3F30070 0DC2A924
	buffer_load_dword v17, v1, s[24:27], 0 offen               // 00000000B7A8: E0501000 80061101
	v_mfma_f32_16x16x32_fp8_fp8 v[112:115], a[38:39], v[86:87], v[112:115]// 00000000B7B0: D3F30070 0DC2AD26
	v_mfma_f32_16x16x32_fp8_fp8 v[116:119], a[40:41], v[80:81], 0// 00000000B7B8: D3F30074 0A02A128
	buffer_load_dwordx4 a[4:7], v22, s[16:19], 0 offen offset:1024// 00000000B7C0: E05C1400 80840416
	v_mfma_f32_16x16x32_fp8_fp8 v[116:119], a[42:43], v[82:83], v[116:119]// 00000000B7C8: D3F30074 0DD2A52A
	v_mfma_f32_16x16x32_fp8_fp8 v[116:119], a[44:45], v[84:85], v[116:119]// 00000000B7D0: D3F30074 0DD2A92C
	v_mfma_f32_16x16x32_fp8_fp8 v[116:119], a[46:47], v[86:87], v[116:119]// 00000000B7D8: D3F30074 0DD2AD2E
	v_mfma_f32_16x16x32_fp8_fp8 v[120:123], a[48:49], v[80:81], 0// 00000000B7E0: D3F30078 0A02A130
	buffer_load_dwordx4 a[8:11], v23, s[16:19], 0 offen        // 00000000B7E8: E05C1000 80840817
	v_mfma_f32_16x16x32_fp8_fp8 v[120:123], a[50:51], v[82:83], v[120:123]// 00000000B7F0: D3F30078 0DE2A532
	v_mfma_f32_16x16x32_fp8_fp8 v[120:123], a[52:53], v[84:85], v[120:123]// 00000000B7F8: D3F30078 0DE2A934
	v_mfma_f32_16x16x32_fp8_fp8 v[120:123], a[54:55], v[86:87], v[120:123]// 00000000B800: D3F30078 0DE2AD36
	v_mfma_f32_16x16x32_fp8_fp8 v[124:127], a[56:57], v[80:81], 0// 00000000B808: D3F3007C 0A02A138
	buffer_load_dwordx4 a[12:15], v23, s[16:19], 0 offen offset:1024// 00000000B810: E05C1400 80840C17
	v_mfma_f32_16x16x32_fp8_fp8 v[124:127], a[58:59], v[82:83], v[124:127]// 00000000B818: D3F3007C 0DF2A53A
	v_mfma_f32_16x16x32_fp8_fp8 v[124:127], a[60:61], v[84:85], v[124:127]// 00000000B820: D3F3007C 0DF2A93C
	v_mfma_f32_16x16x32_fp8_fp8 v[124:127], a[62:63], v[86:87], v[124:127]// 00000000B828: D3F3007C 0DF2AD3E
	v_mfma_f32_16x16x32_fp8_fp8 v[128:131], a[32:33], v[88:89], 0// 00000000B830: D3F30080 0A02B120
	v_mfma_f32_16x16x32_fp8_fp8 v[128:131], a[34:35], v[90:91], v[128:131]// 00000000B838: D3F30080 0E02B522
	v_mfma_f32_16x16x32_fp8_fp8 v[128:131], a[36:37], v[92:93], v[128:131]// 00000000B840: D3F30080 0E02B924
	v_mfma_f32_16x16x32_fp8_fp8 v[128:131], a[38:39], v[94:95], v[128:131]// 00000000B848: D3F30080 0E02BD26
	v_mfma_f32_16x16x32_fp8_fp8 v[132:135], a[40:41], v[88:89], 0// 00000000B850: D3F30084 0A02B128
	v_mfma_f32_16x16x32_fp8_fp8 v[132:135], a[42:43], v[90:91], v[132:135]// 00000000B858: D3F30084 0E12B52A
	v_mfma_f32_16x16x32_fp8_fp8 v[132:135], a[44:45], v[92:93], v[132:135]// 00000000B860: D3F30084 0E12B92C
	v_mfma_f32_16x16x32_fp8_fp8 v[132:135], a[46:47], v[94:95], v[132:135]// 00000000B868: D3F30084 0E12BD2E
	v_mfma_f32_16x16x32_fp8_fp8 v[136:139], a[48:49], v[88:89], 0// 00000000B870: D3F30088 0A02B130
	v_mfma_f32_16x16x32_fp8_fp8 v[136:139], a[50:51], v[90:91], v[136:139]// 00000000B878: D3F30088 0E22B532
	v_mfma_f32_16x16x32_fp8_fp8 v[136:139], a[52:53], v[92:93], v[136:139]// 00000000B880: D3F30088 0E22B934
	v_mfma_f32_16x16x32_fp8_fp8 v[136:139], a[54:55], v[94:95], v[136:139]// 00000000B888: D3F30088 0E22BD36
	v_mfma_f32_16x16x32_fp8_fp8 v[140:143], a[56:57], v[88:89], 0// 00000000B890: D3F3008C 0A02B138
	v_mfma_f32_16x16x32_fp8_fp8 v[140:143], a[58:59], v[90:91], v[140:143]// 00000000B898: D3F3008C 0E32B53A
	v_mfma_f32_16x16x32_fp8_fp8 v[140:143], a[60:61], v[92:93], v[140:143]// 00000000B8A0: D3F3008C 0E32B93C
	v_mfma_f32_16x16x32_fp8_fp8 v[140:143], a[62:63], v[94:95], v[140:143]// 00000000B8A8: D3F3008C 0E32BD3E
	buffer_load_dword v42, v2, s[32:35], 0 offen               // 00000000B8B0: E0501000 80082A02
	v_mov_b32_dpp v64, v43 row_shr:4 row_mask:0xf bank_mask:0xf// 00000000B8B8: 7E8002FA FF01142B
	v_mov_b32_dpp v65, v43 row_shl:4 row_mask:0xf bank_mask:0xf// 00000000B8C0: 7E8202FA FF01042B
	v_cndmask_b32_e64 v248, v43, v64, s[44:45]                 // 00000000B8C8: D10000F8 00B2812B
	v_cndmask_b32_e64 v249, v65, v43, s[44:45]                 // 00000000B8D0: D10000F9 00B25741
	v_mov_b32_dpp v64, v248 row_shr:8 row_mask:0xf bank_mask:0xf// 00000000B8D8: 7E8002FA FF0118F8
	v_mov_b32_dpp v65, v248 row_shl:8 row_mask:0xf bank_mask:0xf// 00000000B8E0: 7E8202FA FF0108F8
	v_mov_b32_dpp v66, v249 row_shr:8 row_mask:0xf bank_mask:0xf// 00000000B8E8: 7E8402FA FF0118F9
	v_mov_b32_dpp v67, v249 row_shl:8 row_mask:0xf bank_mask:0xf// 00000000B8F0: 7E8602FA FF0108F9
	v_mov_b32_e32 v68, v248                                    // 00000000B8F8: 7E8803F8
	v_mov_b32_e32 v69, v249                                    // 00000000B8FC: 7E8A03F9
	v_cndmask_b32_e64 v248, v68, v64, s[42:43]                 // 00000000B900: D10000F8 00AA8144
	v_cndmask_b32_e64 v250, v68, v65, s[78:79]                 // 00000000B908: D10000FA 013A8344
	v_cndmask_b32_e64 v249, v69, v66, s[42:43]                 // 00000000B910: D10000F9 00AA8545
	v_cndmask_b32_e64 v251, v69, v67, s[78:79]                 // 00000000B918: D10000FB 013A8745
	v_mov_b32_dpp v64, v58 row_shr:4 row_mask:0xf bank_mask:0xf// 00000000B920: 7E8002FA FF01143A
	v_mov_b32_dpp v65, v58 row_shl:4 row_mask:0xf bank_mask:0xf// 00000000B928: 7E8202FA FF01043A
	v_cndmask_b32_e64 v252, v58, v64, s[44:45]                 // 00000000B930: D10000FC 00B2813A
	v_cndmask_b32_e64 v253, v65, v58, s[44:45]                 // 00000000B938: D10000FD 00B27541
	v_mov_b32_dpp v64, v252 row_shr:8 row_mask:0xf bank_mask:0xf// 00000000B940: 7E8002FA FF0118FC
	v_mov_b32_dpp v65, v252 row_shl:8 row_mask:0xf bank_mask:0xf// 00000000B948: 7E8202FA FF0108FC
	v_mov_b32_dpp v66, v253 row_shr:8 row_mask:0xf bank_mask:0xf// 00000000B950: 7E8402FA FF0118FD
	v_mov_b32_dpp v67, v253 row_shl:8 row_mask:0xf bank_mask:0xf// 00000000B958: 7E8602FA FF0108FD
	v_mov_b32_e32 v68, v252                                    // 00000000B960: 7E8803FC
	v_mov_b32_e32 v69, v253                                    // 00000000B964: 7E8A03FD
	v_cndmask_b32_e64 v252, v68, v64, s[42:43]                 // 00000000B968: D10000FC 00AA8144
	v_cndmask_b32_e64 v254, v68, v65, s[78:79]                 // 00000000B970: D10000FE 013A8344
	v_cndmask_b32_e64 v253, v69, v66, s[42:43]                 // 00000000B978: D10000FD 00AA8545
	v_cndmask_b32_e64 v255, v69, v67, s[78:79]                 // 00000000B980: D10000FF 013A8745
	buffer_load_dword v57, v55, s[36:39], 0 offen              // 00000000B988: E0501000 80093937
	v_mul_f32_e32 v112, v18, v112                              // 00000000B990: 0AE0E112
	v_mul_f32_e32 v113, v18, v113                              // 00000000B994: 0AE2E312
	v_mul_f32_e32 v114, v18, v114                              // 00000000B998: 0AE4E512
	v_mul_f32_e32 v115, v18, v115                              // 00000000B99C: 0AE6E712
	v_mul_f32_e32 v116, v18, v116                              // 00000000B9A0: 0AE8E912
	v_mul_f32_e32 v117, v18, v117                              // 00000000B9A4: 0AEAEB12
	v_mul_f32_e32 v118, v18, v118                              // 00000000B9A8: 0AECED12
	v_mul_f32_e32 v119, v18, v119                              // 00000000B9AC: 0AEEEF12
	v_mul_f32_e32 v120, v18, v120                              // 00000000B9B0: 0AF0F112
	v_mul_f32_e32 v121, v18, v121                              // 00000000B9B4: 0AF2F312
	v_mul_f32_e32 v122, v18, v122                              // 00000000B9B8: 0AF4F512
	v_mul_f32_e32 v123, v18, v123                              // 00000000B9BC: 0AF6F712
	v_mul_f32_e32 v124, v18, v124                              // 00000000B9C0: 0AF8F912
	v_mul_f32_e32 v125, v18, v125                              // 00000000B9C4: 0AFAFB12
	v_mul_f32_e32 v126, v18, v126                              // 00000000B9C8: 0AFCFD12
	v_mul_f32_e32 v127, v18, v127                              // 00000000B9CC: 0AFEFF12
	buffer_load_dwordx4 a[16:19], v24, s[16:19], 0 offen       // 00000000B9D0: E05C1000 80841018
	v_mul_f32_dpp v112, v248, v112 quad_perm:[0,0,0,0] row_mask:0xf bank_mask:0xf// 00000000B9D8: 0AE0E0FA FF0000F8
	v_mul_f32_dpp v113, v248, v113 quad_perm:[1,1,1,1] row_mask:0xf bank_mask:0xf// 00000000B9E0: 0AE2E2FA FF0055F8
	v_mul_f32_dpp v114, v248, v114 quad_perm:[2,2,2,2] row_mask:0xf bank_mask:0xf// 00000000B9E8: 0AE4E4FA FF00AAF8
	v_mul_f32_dpp v115, v248, v115 quad_perm:[3,3,3,3] row_mask:0xf bank_mask:0xf// 00000000B9F0: 0AE6E6FA FF00FFF8
	v_mul_f32_dpp v116, v249, v116 quad_perm:[0,0,0,0] row_mask:0xf bank_mask:0xf// 00000000B9F8: 0AE8E8FA FF0000F9
	v_mul_f32_dpp v117, v249, v117 quad_perm:[1,1,1,1] row_mask:0xf bank_mask:0xf// 00000000BA00: 0AEAEAFA FF0055F9
	v_mul_f32_dpp v118, v249, v118 quad_perm:[2,2,2,2] row_mask:0xf bank_mask:0xf// 00000000BA08: 0AECECFA FF00AAF9
	v_mul_f32_dpp v119, v249, v119 quad_perm:[3,3,3,3] row_mask:0xf bank_mask:0xf// 00000000BA10: 0AEEEEFA FF00FFF9
	v_mul_f32_dpp v120, v250, v120 quad_perm:[0,0,0,0] row_mask:0xf bank_mask:0xf// 00000000BA18: 0AF0F0FA FF0000FA
	v_mul_f32_dpp v121, v250, v121 quad_perm:[1,1,1,1] row_mask:0xf bank_mask:0xf// 00000000BA20: 0AF2F2FA FF0055FA
	v_mul_f32_dpp v122, v250, v122 quad_perm:[2,2,2,2] row_mask:0xf bank_mask:0xf// 00000000BA28: 0AF4F4FA FF00AAFA
	v_mul_f32_dpp v123, v250, v123 quad_perm:[3,3,3,3] row_mask:0xf bank_mask:0xf// 00000000BA30: 0AF6F6FA FF00FFFA
	v_mul_f32_dpp v124, v251, v124 quad_perm:[0,0,0,0] row_mask:0xf bank_mask:0xf// 00000000BA38: 0AF8F8FA FF0000FB
	v_mul_f32_dpp v125, v251, v125 quad_perm:[1,1,1,1] row_mask:0xf bank_mask:0xf// 00000000BA40: 0AFAFAFA FF0055FB
	v_mul_f32_dpp v126, v251, v126 quad_perm:[2,2,2,2] row_mask:0xf bank_mask:0xf// 00000000BA48: 0AFCFCFA FF00AAFB
	v_mul_f32_dpp v127, v251, v127 quad_perm:[3,3,3,3] row_mask:0xf bank_mask:0xf// 00000000BA50: 0AFEFEFA FF00FFFB
	buffer_load_dwordx4 a[20:23], v24, s[16:19], 0 offen offset:1024// 00000000BA58: E05C1400 80841418
	s_cmp_le_i32 s90, s89                                      // 00000000BA60: BF05595A
	s_cbranch_scc1 label_268B                                  // 00000000BA64: BF850071
	v_mov_b32_e32 v66, 0xff800000                              // 00000000BA68: 7E8402FF FF800000
	s_mov_b32 s60, s90                                         // 00000000BA70: BEBC005A
	s_add_u32 s61, s89, 0xff                                   // 00000000BA74: 803DFF59 000000FF
	v_mov_b32_e32 v64, s61                                     // 00000000BA7C: 7E80023D
	v_lshrrev_b32_e32 v240, 4, v0                              // 00000000BA80: 21E00084
	v_mul_i32_i24_e32 v240, 4, v240                            // 00000000BA84: 0DE1E084
	v_add_u32_e32 v240, s60, v240                              // 00000000BA88: 69E1E03C
	s_mov_b32 s61, 0                                           // 00000000BA8C: BEBD0080
	s_mul_i32 s60, 16, s7                                      // 00000000BA90: 923C0790
	v_sub_u32_e64 v240, v240, s61                              // 00000000BA94: D13500F0 00007BF0
	v_add_u32_e32 v240, s60, v240                              // 00000000BA9C: 69E1E03C
	v_add_u32_e32 v241, 1, v240                                // 00000000BAA0: 69E3E081
	v_add_u32_e32 v242, 2, v240                                // 00000000BAA4: 69E5E082
	v_add_u32_e32 v243, 3, v240                                // 00000000BAA8: 69E7E083
	v_cmp_le_u32_e64 s[40:41], v240, v64                       // 00000000BAAC: D0CB0028 000281F0
	v_add_u32_e32 v240, 64, v240                               // 00000000BAB4: 69E1E0C0
	s_nop 0                                                    // 00000000BAB8: BF800000
	v_cndmask_b32_e64 v112, v66, v112, s[40:41]                // 00000000BABC: D1000070 00A2E142
	v_cmp_le_u32_e64 s[40:41], v241, v64                       // 00000000BAC4: D0CB0028 000281F1
	v_add_u32_e32 v241, 64, v241                               // 00000000BACC: 69E3E2C0
	s_nop 0                                                    // 00000000BAD0: BF800000
	v_cndmask_b32_e64 v113, v66, v113, s[40:41]                // 00000000BAD4: D1000071 00A2E342
	v_cmp_le_u32_e64 s[40:41], v242, v64                       // 00000000BADC: D0CB0028 000281F2
	v_add_u32_e32 v242, 64, v242                               // 00000000BAE4: 69E5E4C0
	s_nop 0                                                    // 00000000BAE8: BF800000
	v_cndmask_b32_e64 v114, v66, v114, s[40:41]                // 00000000BAEC: D1000072 00A2E542
	v_cmp_le_u32_e64 s[40:41], v243, v64                       // 00000000BAF4: D0CB0028 000281F3
	v_add_u32_e32 v243, 64, v243                               // 00000000BAFC: 69E7E6C0
	s_nop 0                                                    // 00000000BB00: BF800000
	v_cndmask_b32_e64 v115, v66, v115, s[40:41]                // 00000000BB04: D1000073 00A2E742
	v_cmp_le_u32_e64 s[40:41], v240, v64                       // 00000000BB0C: D0CB0028 000281F0
	v_add_u32_e32 v240, 64, v240                               // 00000000BB14: 69E1E0C0
	s_nop 0                                                    // 00000000BB18: BF800000
	v_cndmask_b32_e64 v116, v66, v116, s[40:41]                // 00000000BB1C: D1000074 00A2E942
	v_cmp_le_u32_e64 s[40:41], v241, v64                       // 00000000BB24: D0CB0028 000281F1
	v_add_u32_e32 v241, 64, v241                               // 00000000BB2C: 69E3E2C0
	s_nop 0                                                    // 00000000BB30: BF800000
	v_cndmask_b32_e64 v117, v66, v117, s[40:41]                // 00000000BB34: D1000075 00A2EB42
	v_cmp_le_u32_e64 s[40:41], v242, v64                       // 00000000BB3C: D0CB0028 000281F2
	v_add_u32_e32 v242, 64, v242                               // 00000000BB44: 69E5E4C0
	s_nop 0                                                    // 00000000BB48: BF800000
	v_cndmask_b32_e64 v118, v66, v118, s[40:41]                // 00000000BB4C: D1000076 00A2ED42
	v_cmp_le_u32_e64 s[40:41], v243, v64                       // 00000000BB54: D0CB0028 000281F3
	v_add_u32_e32 v243, 64, v243                               // 00000000BB5C: 69E7E6C0
	s_nop 0                                                    // 00000000BB60: BF800000
	v_cndmask_b32_e64 v119, v66, v119, s[40:41]                // 00000000BB64: D1000077 00A2EF42
	v_cmp_le_u32_e64 s[40:41], v240, v64                       // 00000000BB6C: D0CB0028 000281F0
	v_add_u32_e32 v240, 64, v240                               // 00000000BB74: 69E1E0C0
	s_nop 0                                                    // 00000000BB78: BF800000
	v_cndmask_b32_e64 v120, v66, v120, s[40:41]                // 00000000BB7C: D1000078 00A2F142
	v_cmp_le_u32_e64 s[40:41], v241, v64                       // 00000000BB84: D0CB0028 000281F1
	v_add_u32_e32 v241, 64, v241                               // 00000000BB8C: 69E3E2C0
	s_nop 0                                                    // 00000000BB90: BF800000
	v_cndmask_b32_e64 v121, v66, v121, s[40:41]                // 00000000BB94: D1000079 00A2F342
	v_cmp_le_u32_e64 s[40:41], v242, v64                       // 00000000BB9C: D0CB0028 000281F2
	v_add_u32_e32 v242, 64, v242                               // 00000000BBA4: 69E5E4C0
	s_nop 0                                                    // 00000000BBA8: BF800000
	v_cndmask_b32_e64 v122, v66, v122, s[40:41]                // 00000000BBAC: D100007A 00A2F542
	v_cmp_le_u32_e64 s[40:41], v243, v64                       // 00000000BBB4: D0CB0028 000281F3
	v_add_u32_e32 v243, 64, v243                               // 00000000BBBC: 69E7E6C0
	s_nop 0                                                    // 00000000BBC0: BF800000
	v_cndmask_b32_e64 v123, v66, v123, s[40:41]                // 00000000BBC4: D100007B 00A2F742
	v_cmp_le_u32_e64 s[40:41], v240, v64                       // 00000000BBCC: D0CB0028 000281F0
	v_add_u32_e32 v240, 64, v240                               // 00000000BBD4: 69E1E0C0
	s_nop 0                                                    // 00000000BBD8: BF800000
	v_cndmask_b32_e64 v124, v66, v124, s[40:41]                // 00000000BBDC: D100007C 00A2F942
	v_cmp_le_u32_e64 s[40:41], v241, v64                       // 00000000BBE4: D0CB0028 000281F1
	v_add_u32_e32 v241, 64, v241                               // 00000000BBEC: 69E3E2C0
	s_nop 0                                                    // 00000000BBF0: BF800000
	v_cndmask_b32_e64 v125, v66, v125, s[40:41]                // 00000000BBF4: D100007D 00A2FB42
	v_cmp_le_u32_e64 s[40:41], v242, v64                       // 00000000BBFC: D0CB0028 000281F2
	v_add_u32_e32 v242, 64, v242                               // 00000000BC04: 69E5E4C0
	s_nop 0                                                    // 00000000BC08: BF800000
	v_cndmask_b32_e64 v126, v66, v126, s[40:41]                // 00000000BC0C: D100007E 00A2FD42
	v_cmp_le_u32_e64 s[40:41], v243, v64                       // 00000000BC14: D0CB0028 000281F3
	v_add_u32_e32 v243, 64, v243                               // 00000000BC1C: 69E7E6C0
	s_nop 0                                                    // 00000000BC20: BF800000
	v_cndmask_b32_e64 v127, v66, v127, s[40:41]                // 00000000BC24: D100007F 00A2FF42

000000000000bc2c <label_268B>:
	v_mov_b32_e32 v48, v112                                    // 00000000BC2C: 7E600370
	v_max3_f32 v48, v112, v113, v48                            // 00000000BC30: D1D30030 04C2E370
	v_max3_f32 v48, v114, v115, v48                            // 00000000BC38: D1D30030 04C2E772
	v_max3_f32 v48, v116, v117, v48                            // 00000000BC40: D1D30030 04C2EB74
	v_max3_f32 v48, v118, v119, v48                            // 00000000BC48: D1D30030 04C2EF76
	v_max3_f32 v48, v120, v121, v48                            // 00000000BC50: D1D30030 04C2F378
	v_max3_f32 v48, v122, v123, v48                            // 00000000BC58: D1D30030 04C2F77A
	v_max3_f32 v48, v124, v125, v48                            // 00000000BC60: D1D30030 04C2FB7C
	v_max3_f32 v48, v126, v127, v48                            // 00000000BC68: D1D30030 04C2FF7E
	ds_write_b32 v8, v48 offset:16896                          // 00000000BC70: D81A4200 00003008
	buffer_load_dwordx4 a[24:27], v25, s[16:19], 0 offen       // 00000000BC78: E05C1000 80841819
	v_mul_u32_u24_dpp v64, v16, v54 row_newbcast:1 row_mask:0xf bank_mask:0xf// 00000000BC80: 10806CFA FF015110
	v_mul_u32_u24_dpp v65, v16, v54 row_newbcast:5 row_mask:0xf bank_mask:0xf// 00000000BC88: 10826CFA FF015510
	v_mul_u32_u24_dpp v66, v16, v54 row_newbcast:9 row_mask:0xf bank_mask:0xf// 00000000BC90: 10846CFA FF015910
	v_mul_u32_u24_dpp v67, v16, v54 row_newbcast:13 row_mask:0xf bank_mask:0xf// 00000000BC98: 10866CFA FF015D10
	v_add_u32_e32 v30, v64, v6                                 // 00000000BCA0: 683C0D40
	v_add_u32_e32 v31, v65, v6                                 // 00000000BCA4: 683E0D41
	v_add_u32_e32 v32, v66, v6                                 // 00000000BCA8: 68400D42
	v_add_u32_e32 v33, v67, v6                                 // 00000000BCAC: 68420D43
	v_mul_f32_e32 v208, v49, v208                              // 00000000BCB0: 0BA1A131
	v_mul_f32_e32 v209, v49, v209                              // 00000000BCB4: 0BA3A331
	v_mul_f32_e32 v210, v49, v210                              // 00000000BCB8: 0BA5A531
	v_mul_f32_e32 v211, v49, v211                              // 00000000BCBC: 0BA7A731
	v_mul_f32_e32 v212, v49, v212                              // 00000000BCC0: 0BA9A931
	v_mul_f32_e32 v213, v49, v213                              // 00000000BCC4: 0BABAB31
	v_mul_f32_e32 v214, v49, v214                              // 00000000BCC8: 0BADAD31
	v_mul_f32_e32 v215, v49, v215                              // 00000000BCCC: 0BAFAF31
	s_waitcnt lgkmcnt(0)                                       // 00000000BCD0: BF8CC07F
	s_barrier                                                  // 00000000BCD4: BF8A0000
	ds_read_b32 v64, v7 offset:16896                           // 00000000BCD8: D86C4200 40000007
	ds_read_b32 v65, v7 offset:16960                           // 00000000BCE0: D86C4240 41000007
	ds_read_b32 v66, v7 offset:17024                           // 00000000BCE8: D86C4280 42000007
	ds_read_b32 v67, v7 offset:17088                           // 00000000BCF0: D86C42C0 43000007
	ds_read_b32 v68, v7 offset:17152                           // 00000000BCF8: D86C4300 44000007
	ds_read_b32 v69, v7 offset:17216                           // 00000000BD00: D86C4340 45000007
	ds_read_b32 v70, v7 offset:17280                           // 00000000BD08: D86C4380 46000007
	ds_read_b32 v71, v7 offset:17344                           // 00000000BD10: D86C43C0 47000007
	ds_read_b32 v72, v7 offset:17408                           // 00000000BD18: D86C4400 48000007
	ds_read_b32 v73, v7 offset:17472                           // 00000000BD20: D86C4440 49000007
	ds_read_b32 v74, v7 offset:17536                           // 00000000BD28: D86C4480 4A000007
	ds_read_b32 v75, v7 offset:17600                           // 00000000BD30: D86C44C0 4B000007
	ds_read_b32 v76, v7 offset:17664                           // 00000000BD38: D86C4500 4C000007
	ds_read_b32 v77, v7 offset:17728                           // 00000000BD40: D86C4540 4D000007
	ds_read_b32 v78, v7 offset:17792                           // 00000000BD48: D86C4580 4E000007
	ds_read_b32 v79, v7 offset:17856                           // 00000000BD50: D86C45C0 4F000007
	buffer_load_dwordx4 a[28:31], v25, s[16:19], 0 offen offset:1024// 00000000BD58: E05C1400 80841C19
	v_mul_f32_e32 v176, v44, v176                              // 00000000BD60: 0B61612C
	v_mul_f32_e32 v177, v44, v177                              // 00000000BD64: 0B63632C
	v_mul_f32_e32 v178, v44, v178                              // 00000000BD68: 0B65652C
	v_mul_f32_e32 v179, v44, v179                              // 00000000BD6C: 0B67672C
	v_mul_f32_e32 v180, v44, v180                              // 00000000BD70: 0B69692C
	v_mul_f32_e32 v181, v44, v181                              // 00000000BD74: 0B6B6B2C
	v_mul_f32_e32 v182, v44, v182                              // 00000000BD78: 0B6D6D2C
	v_mul_f32_e32 v183, v44, v183                              // 00000000BD7C: 0B6F6F2C
	s_waitcnt lgkmcnt(0)                                       // 00000000BD80: BF8CC07F
	v_max3_f32 v48, v64, v65, v48                              // 00000000BD84: D1D30030 04C28340
	v_max3_f32 v48, v66, v67, v48                              // 00000000BD8C: D1D30030 04C28742
	v_max3_f32 v48, v68, v69, v48                              // 00000000BD94: D1D30030 04C28B44
	v_max3_f32 v48, v70, v71, v48                              // 00000000BD9C: D1D30030 04C28F46
	v_max3_f32 v48, v72, v73, v48                              // 00000000BDA4: D1D30030 04C29348
	v_max3_f32 v48, v74, v75, v48                              // 00000000BDAC: D1D30030 04C2974A
	v_max3_f32 v48, v76, v77, v48                              // 00000000BDB4: D1D30030 04C29B4C
	v_max3_f32 v48, v78, v79, v48                              // 00000000BDBC: D1D30030 04C29F4E
	buffer_load_dwordx4 a[64:67], v30, s[20:23], 0 offen       // 00000000BDC4: E05C1000 8085401E
	v_mov_b32_e32 v64, 0xff800000                              // 00000000BDCC: 7E8002FF FF800000
	v_cmp_eq_u32_e64 s[40:41], v64, v11                        // 00000000BDD4: D0CA0028 00021740
	s_nop 1                                                    // 00000000BDDC: BF800001
	v_max_f32_e32 v15, v48, v11                                // 00000000BDE0: 161E1730
	v_mul_f32_e32 v53, s64, v15                                // 00000000BDE4: 0A6A1E40
	v_fma_f32 v112, v112, s64, -v53                            // 00000000BDE8: D1CB0070 84D48170
	v_fma_f32 v113, v113, s64, -v53                            // 00000000BDF0: D1CB0071 84D48171
	v_fma_f32 v114, v114, s64, -v53                            // 00000000BDF8: D1CB0072 84D48172
	v_fma_f32 v115, v115, s64, -v53                            // 00000000BE00: D1CB0073 84D48173
	v_fma_f32 v116, v116, s64, -v53                            // 00000000BE08: D1CB0074 84D48174
	v_fma_f32 v117, v117, s64, -v53                            // 00000000BE10: D1CB0075 84D48175
	v_fma_f32 v118, v118, s64, -v53                            // 00000000BE18: D1CB0076 84D48176
	v_fma_f32 v119, v119, s64, -v53                            // 00000000BE20: D1CB0077 84D48177
	v_fma_f32 v120, v120, s64, -v53                            // 00000000BE28: D1CB0078 84D48178
	v_fma_f32 v121, v121, s64, -v53                            // 00000000BE30: D1CB0079 84D48179
	v_fma_f32 v122, v122, s64, -v53                            // 00000000BE38: D1CB007A 84D4817A
	v_fma_f32 v123, v123, s64, -v53                            // 00000000BE40: D1CB007B 84D4817B
	v_fma_f32 v124, v124, s64, -v53                            // 00000000BE48: D1CB007C 84D4817C
	v_fma_f32 v125, v125, s64, -v53                            // 00000000BE50: D1CB007D 84D4817D
	v_fma_f32 v126, v126, s64, -v53                            // 00000000BE58: D1CB007E 84D4817E
	v_fma_f32 v127, v127, s64, -v53                            // 00000000BE60: D1CB007F 84D4817F
	buffer_load_dwordx4 a[68:71], v31, s[20:23], 0 offen       // 00000000BE68: E05C1000 8085441F
	v_exp_f32_e32 v112, v112                                   // 00000000BE70: 7EE04170
	v_exp_f32_e32 v113, v113                                   // 00000000BE74: 7EE24171
	v_exp_f32_e32 v114, v114                                   // 00000000BE78: 7EE44172
	v_exp_f32_e32 v115, v115                                   // 00000000BE7C: 7EE64173
	v_exp_f32_e32 v116, v116                                   // 00000000BE80: 7EE84174
	v_exp_f32_e32 v117, v117                                   // 00000000BE84: 7EEA4175
	v_exp_f32_e32 v118, v118                                   // 00000000BE88: 7EEC4176
	v_exp_f32_e32 v119, v119                                   // 00000000BE8C: 7EEE4177
	v_exp_f32_e32 v120, v120                                   // 00000000BE90: 7EF04178
	v_exp_f32_e32 v121, v121                                   // 00000000BE94: 7EF24179
	v_exp_f32_e32 v122, v122                                   // 00000000BE98: 7EF4417A
	v_exp_f32_e32 v123, v123                                   // 00000000BE9C: 7EF6417B
	v_exp_f32_e32 v124, v124                                   // 00000000BEA0: 7EF8417C
	v_exp_f32_e32 v125, v125                                   // 00000000BEA4: 7EFA417D
	v_exp_f32_e32 v126, v126                                   // 00000000BEA8: 7EFC417E
	v_exp_f32_e32 v127, v127                                   // 00000000BEAC: 7EFE417F
	buffer_load_dwordx4 a[72:75], v32, s[20:23], 0 offen       // 00000000BEB0: E05C1000 80854820
	v_mul_f32_dpp v240, v252, v112 quad_perm:[0,0,0,0] row_mask:0xf bank_mask:0xf// 00000000BEB8: 0BE0E0FA FF0000FC
	v_mul_f32_dpp v241, v252, v113 quad_perm:[1,1,1,1] row_mask:0xf bank_mask:0xf// 00000000BEC0: 0BE2E2FA FF0055FC
	v_mul_f32_dpp v242, v252, v114 quad_perm:[2,2,2,2] row_mask:0xf bank_mask:0xf// 00000000BEC8: 0BE4E4FA FF00AAFC
	v_mul_f32_dpp v243, v252, v115 quad_perm:[3,3,3,3] row_mask:0xf bank_mask:0xf// 00000000BED0: 0BE6E6FA FF00FFFC
	v_mul_f32_dpp v244, v253, v116 quad_perm:[0,0,0,0] row_mask:0xf bank_mask:0xf// 00000000BED8: 0BE8E8FA FF0000FD
	v_mul_f32_dpp v245, v253, v117 quad_perm:[1,1,1,1] row_mask:0xf bank_mask:0xf// 00000000BEE0: 0BEAEAFA FF0055FD
	v_mul_f32_dpp v246, v253, v118 quad_perm:[2,2,2,2] row_mask:0xf bank_mask:0xf// 00000000BEE8: 0BECECFA FF00AAFD
	v_mul_f32_dpp v247, v253, v119 quad_perm:[3,3,3,3] row_mask:0xf bank_mask:0xf// 00000000BEF0: 0BEEEEFA FF00FFFD
	v_mul_f32_dpp v248, v254, v120 quad_perm:[0,0,0,0] row_mask:0xf bank_mask:0xf// 00000000BEF8: 0BF0F0FA FF0000FE
	v_mul_f32_dpp v249, v254, v121 quad_perm:[1,1,1,1] row_mask:0xf bank_mask:0xf// 00000000BF00: 0BF2F2FA FF0055FE
	v_mul_f32_dpp v250, v254, v122 quad_perm:[2,2,2,2] row_mask:0xf bank_mask:0xf// 00000000BF08: 0BF4F4FA FF00AAFE
	v_mul_f32_dpp v251, v254, v123 quad_perm:[3,3,3,3] row_mask:0xf bank_mask:0xf// 00000000BF10: 0BF6F6FA FF00FFFE
	v_mul_f32_dpp v252, v255, v124 quad_perm:[0,0,0,0] row_mask:0xf bank_mask:0xf// 00000000BF18: 0BF8F8FA FF0000FF
	v_mul_f32_dpp v253, v255, v125 quad_perm:[1,1,1,1] row_mask:0xf bank_mask:0xf// 00000000BF20: 0BFAFAFA FF0055FF
	v_mul_f32_dpp v254, v255, v126 quad_perm:[2,2,2,2] row_mask:0xf bank_mask:0xf// 00000000BF28: 0BFCFCFA FF00AAFF
	v_mul_f32_dpp v255, v255, v127 quad_perm:[3,3,3,3] row_mask:0xf bank_mask:0xf// 00000000BF30: 0BFEFEFA FF00FFFF
	v_mov_b32_e32 v48, 0x358637bd                              // 00000000BF38: 7E6002FF 358637BD
	v_max3_f32 v48, |v240|, |v241|, v48                        // 00000000BF40: D1D30330 04C3E3F0
	v_max3_f32 v48, |v242|, |v243|, v48                        // 00000000BF48: D1D30330 04C3E7F2
	v_max3_f32 v48, |v244|, |v245|, v48                        // 00000000BF50: D1D30330 04C3EBF4
	v_max3_f32 v48, |v246|, |v247|, v48                        // 00000000BF58: D1D30330 04C3EFF6
	v_max3_f32 v48, |v248|, |v249|, v48                        // 00000000BF60: D1D30330 04C3F3F8
	v_max3_f32 v48, |v250|, |v251|, v48                        // 00000000BF68: D1D30330 04C3F7FA
	v_max3_f32 v48, |v252|, |v253|, v48                        // 00000000BF70: D1D30330 04C3FBFC
	v_max3_f32 v48, |v254|, |v255|, v48                        // 00000000BF78: D1D30330 04C3FFFE
	buffer_load_dwordx4 a[76:79], v33, s[20:23], 0 offen       // 00000000BF80: E05C1000 80854C21
	ds_write_b32 v8, v48 offset:20992                          // 00000000BF88: D81A5200 00003008
	v_sub_f32_e32 v49, v11, v15                                // 00000000BF90: 04621F0B
	v_cndmask_b32_e64 v49, v49, 0, s[40:41]                    // 00000000BF94: D1000031 00A10131
	v_mov_b32_e32 v11, v15                                     // 00000000BF9C: 7E16030F
	v_mul_f32_e32 v49, s64, v49                                // 00000000BFA0: 0A626240
	v_exp_f32_e32 v49, v49                                     // 00000000BFA4: 7E624131
	s_waitcnt lgkmcnt(0)                                       // 00000000BFA8: BF8CC07F
	s_barrier                                                  // 00000000BFAC: BF8A0000
	ds_read_b32 v64, v7 offset:20992                           // 00000000BFB0: D86C5200 40000007
	ds_read_b32 v65, v7 offset:21056                           // 00000000BFB8: D86C5240 41000007
	ds_read_b32 v66, v7 offset:21120                           // 00000000BFC0: D86C5280 42000007
	ds_read_b32 v67, v7 offset:21184                           // 00000000BFC8: D86C52C0 43000007
	ds_read_b32 v68, v7 offset:21248                           // 00000000BFD0: D86C5300 44000007
	ds_read_b32 v69, v7 offset:21312                           // 00000000BFD8: D86C5340 45000007
	ds_read_b32 v70, v7 offset:21376                           // 00000000BFE0: D86C5380 46000007
	ds_read_b32 v71, v7 offset:21440                           // 00000000BFE8: D86C53C0 47000007
	ds_read_b32 v72, v7 offset:21504                           // 00000000BFF0: D86C5400 48000007
	ds_read_b32 v73, v7 offset:21568                           // 00000000BFF8: D86C5440 49000007
	ds_read_b32 v74, v7 offset:21632                           // 00000000C000: D86C5480 4A000007
	ds_read_b32 v75, v7 offset:21696                           // 00000000C008: D86C54C0 4B000007
	ds_read_b32 v76, v7 offset:21760                           // 00000000C010: D86C5500 4C000007
	ds_read_b32 v77, v7 offset:21824                           // 00000000C018: D86C5540 4D000007
	ds_read_b32 v78, v7 offset:21888                           // 00000000C020: D86C5580 4E000007
	ds_read_b32 v79, v7 offset:21952                           // 00000000C028: D86C55C0 4F000007
	v_mul_f32_e32 v38, v49, v38                                // 00000000C030: 0A4C4D31
	v_mov_b32_e32 v15, v112                                    // 00000000C034: 7E1E0370
	v_add_f32_e32 v15, v113, v15                               // 00000000C038: 021E1F71
	v_add_f32_e32 v15, v114, v15                               // 00000000C03C: 021E1F72
	v_add_f32_e32 v15, v115, v15                               // 00000000C040: 021E1F73
	v_add_f32_e32 v15, v116, v15                               // 00000000C044: 021E1F74
	v_add_f32_e32 v15, v117, v15                               // 00000000C048: 021E1F75
	v_add_f32_e32 v15, v118, v15                               // 00000000C04C: 021E1F76
	v_add_f32_e32 v15, v119, v15                               // 00000000C050: 021E1F77
	v_add_f32_e32 v15, v120, v15                               // 00000000C054: 021E1F78
	v_add_f32_e32 v15, v121, v15                               // 00000000C058: 021E1F79
	v_add_f32_e32 v15, v122, v15                               // 00000000C05C: 021E1F7A
	v_add_f32_e32 v15, v123, v15                               // 00000000C060: 021E1F7B
	v_add_f32_e32 v15, v124, v15                               // 00000000C064: 021E1F7C
	v_add_f32_e32 v15, v125, v15                               // 00000000C068: 021E1F7D
	v_add_f32_e32 v15, v126, v15                               // 00000000C06C: 021E1F7E
	v_add_f32_e32 v15, v127, v15                               // 00000000C070: 021E1F7F
	v_add_f32_e32 v38, v15, v38                                // 00000000C074: 024C4D0F
	s_waitcnt lgkmcnt(0)                                       // 00000000C078: BF8CC07F
	v_max3_f32 v48, |v64|, |v65|, v48                          // 00000000C07C: D1D30330 04C28340
	v_max3_f32 v48, |v66|, |v67|, v48                          // 00000000C084: D1D30330 04C28742
	v_max3_f32 v48, |v68|, |v69|, v48                          // 00000000C08C: D1D30330 04C28B44
	v_max3_f32 v48, |v70|, |v71|, v48                          // 00000000C094: D1D30330 04C28F46
	v_max3_f32 v48, |v72|, |v73|, v48                          // 00000000C09C: D1D30330 04C29348
	v_max3_f32 v48, |v74|, |v75|, v48                          // 00000000C0A4: D1D30330 04C2974A
	v_max3_f32 v48, |v76|, |v77|, v48                          // 00000000C0AC: D1D30330 04C29B4C
	v_max3_f32 v48, |v78|, |v79|, v48                          // 00000000C0B4: D1D30330 04C29F4E
	s_nop 2                                                    // 00000000C0BC: BF800002
	v_rcp_f32_e32 v48, v48                                     // 00000000C0C0: 7E604530
	s_nop 1                                                    // 00000000C0C4: BF800001
	v_mul_f32_e32 v48, 0x43e00000, v48                         // 00000000C0C8: 0A6060FF 43E00000
	v_mul_f32_e32 v112, v48, v240                              // 00000000C0D0: 0AE1E130
	v_mul_f32_e32 v113, v48, v241                              // 00000000C0D4: 0AE3E330
	v_mul_f32_e32 v114, v48, v242                              // 00000000C0D8: 0AE5E530
	v_mul_f32_e32 v115, v48, v243                              // 00000000C0DC: 0AE7E730
	v_mul_f32_e32 v116, v48, v244                              // 00000000C0E0: 0AE9E930
	v_mul_f32_e32 v117, v48, v245                              // 00000000C0E4: 0AEBEB30
	v_mul_f32_e32 v118, v48, v246                              // 00000000C0E8: 0AEDED30
	v_mul_f32_e32 v119, v48, v247                              // 00000000C0EC: 0AEFEF30
	v_mul_f32_e32 v120, v48, v248                              // 00000000C0F0: 0AF1F130
	v_mul_f32_e32 v121, v48, v249                              // 00000000C0F4: 0AF3F330
	v_mul_f32_e32 v122, v48, v250                              // 00000000C0F8: 0AF5F530
	v_mul_f32_e32 v123, v48, v251                              // 00000000C0FC: 0AF7F730
	v_mul_f32_e32 v124, v48, v252                              // 00000000C100: 0AF9F930
	v_mul_f32_e32 v125, v48, v253                              // 00000000C104: 0AFBFB30
	v_mul_f32_e32 v126, v48, v254                              // 00000000C108: 0AFDFD30
	v_mul_f32_e32 v127, v48, v255                              // 00000000C10C: 0AFFFF30
	v_cvt_pk_fp8_f32 v112, v112, v113                          // 00000000C110: D2A20070 0002E370
	v_cvt_pk_fp8_f32 v112, v114, v115 op_sel:[0,0,1]           // 00000000C118: D2A24070 0002E772
	v_cvt_pk_fp8_f32 v113, v116, v117                          // 00000000C120: D2A20071 0002EB74
	v_cvt_pk_fp8_f32 v113, v118, v119 op_sel:[0,0,1]           // 00000000C128: D2A24071 0002EF76
	v_cvt_pk_fp8_f32 v114, v120, v121                          // 00000000C130: D2A20072 0002F378
	v_cvt_pk_fp8_f32 v114, v122, v123 op_sel:[0,0,1]           // 00000000C138: D2A24072 0002F77A
	v_cvt_pk_fp8_f32 v115, v124, v125                          // 00000000C140: D2A20073 0002FB7C
	v_cvt_pk_fp8_f32 v115, v126, v127 op_sel:[0,0,1]           // 00000000C148: D2A24073 0002FF7E
	ds_write_b32 v10, v112 offset:25088                        // 00000000C150: D81A6200 0000700A
	ds_write_b32 v10, v113 offset:26112                        // 00000000C158: D81A6600 0000710A
	ds_write_b32 v10, v114 offset:27136                        // 00000000C160: D81A6A00 0000720A
	ds_write_b32 v10, v115 offset:28160                        // 00000000C168: D81A6E00 0000730A
	v_add_f32_e32 v208, v208, v176                             // 00000000C170: 03A161D0
	v_add_f32_e32 v209, v209, v177                             // 00000000C174: 03A363D1
	v_add_f32_e32 v210, v210, v178                             // 00000000C178: 03A565D2
	v_add_f32_e32 v211, v211, v179                             // 00000000C17C: 03A767D3
	v_add_f32_e32 v212, v212, v180                             // 00000000C180: 03A969D4
	v_add_f32_e32 v213, v213, v181                             // 00000000C184: 03AB6BD5
	v_add_f32_e32 v214, v214, v182                             // 00000000C188: 03AD6DD6
	v_add_f32_e32 v215, v215, v183                             // 00000000C18C: 03AF6FD7
	v_rcp_f32_e32 v44, v48                                     // 00000000C190: 7E584530
	s_waitcnt lgkmcnt(0)                                       // 00000000C194: BF8CC07F
	s_barrier                                                  // 00000000C198: BF8A0000
	ds_read_b64 v[112:113], v9 offset:25088                    // 00000000C19C: D8EC6200 70000009
	ds_read_b64 v[114:115], v9 offset:25216                    // 00000000C1A4: D8EC6280 72000009
	ds_read_b64 v[116:117], v9 offset:26112                    // 00000000C1AC: D8EC6600 74000009
	ds_read_b64 v[118:119], v9 offset:26240                    // 00000000C1B4: D8EC6680 76000009
	ds_read_b64 v[120:121], v9 offset:27136                    // 00000000C1BC: D8EC6A00 78000009
	ds_read_b64 v[122:123], v9 offset:27264                    // 00000000C1C4: D8EC6A80 7A000009
	ds_read_b64 v[124:125], v9 offset:28160                    // 00000000C1CC: D8EC6E00 7C000009
	ds_read_b64 v[126:127], v9 offset:28288                    // 00000000C1D4: D8EC6E80 7E000009
	v_mov_b32_dpp v64, v43 row_shr:4 row_mask:0xf bank_mask:0xf// 00000000C1DC: 7E8002FA FF01142B
	v_mov_b32_dpp v65, v43 row_shl:4 row_mask:0xf bank_mask:0xf// 00000000C1E4: 7E8202FA FF01042B
	v_cndmask_b32_e64 v248, v43, v64, s[44:45]                 // 00000000C1EC: D10000F8 00B2812B
	v_cndmask_b32_e64 v249, v65, v43, s[44:45]                 // 00000000C1F4: D10000F9 00B25741
	v_mov_b32_dpp v64, v248 row_shr:8 row_mask:0xf bank_mask:0xf// 00000000C1FC: 7E8002FA FF0118F8
	v_mov_b32_dpp v65, v248 row_shl:8 row_mask:0xf bank_mask:0xf// 00000000C204: 7E8202FA FF0108F8
	v_mov_b32_dpp v66, v249 row_shr:8 row_mask:0xf bank_mask:0xf// 00000000C20C: 7E8402FA FF0118F9
	v_mov_b32_dpp v67, v249 row_shl:8 row_mask:0xf bank_mask:0xf// 00000000C214: 7E8602FA FF0108F9
	v_mov_b32_e32 v68, v248                                    // 00000000C21C: 7E8803F8
	v_mov_b32_e32 v69, v249                                    // 00000000C220: 7E8A03F9
	v_cndmask_b32_e64 v248, v68, v64, s[42:43]                 // 00000000C224: D10000F8 00AA8144
	v_cndmask_b32_e64 v250, v68, v65, s[78:79]                 // 00000000C22C: D10000FA 013A8344
	v_cndmask_b32_e64 v249, v69, v66, s[42:43]                 // 00000000C234: D10000F9 00AA8545
	v_cndmask_b32_e64 v251, v69, v67, s[78:79]                 // 00000000C23C: D10000FB 013A8745
	v_mov_b32_dpp v64, v58 row_shr:4 row_mask:0xf bank_mask:0xf// 00000000C244: 7E8002FA FF01143A
	v_mov_b32_dpp v65, v58 row_shl:4 row_mask:0xf bank_mask:0xf// 00000000C24C: 7E8202FA FF01043A
	v_cndmask_b32_e64 v252, v58, v64, s[44:45]                 // 00000000C254: D10000FC 00B2813A
	v_cndmask_b32_e64 v253, v65, v58, s[44:45]                 // 00000000C25C: D10000FD 00B27541
	v_mov_b32_dpp v64, v252 row_shr:8 row_mask:0xf bank_mask:0xf// 00000000C264: 7E8002FA FF0118FC
	v_mov_b32_dpp v65, v252 row_shl:8 row_mask:0xf bank_mask:0xf// 00000000C26C: 7E8202FA FF0108FC
	v_mov_b32_dpp v66, v253 row_shr:8 row_mask:0xf bank_mask:0xf// 00000000C274: 7E8402FA FF0118FD
	v_mov_b32_dpp v67, v253 row_shl:8 row_mask:0xf bank_mask:0xf// 00000000C27C: 7E8602FA FF0108FD
	v_mov_b32_e32 v68, v252                                    // 00000000C284: 7E8803FC
	v_mov_b32_e32 v69, v253                                    // 00000000C288: 7E8A03FD
	v_cndmask_b32_e64 v252, v68, v64, s[42:43]                 // 00000000C28C: D10000FC 00AA8144
	v_cndmask_b32_e64 v254, v68, v65, s[78:79]                 // 00000000C294: D10000FE 013A8344
	v_cndmask_b32_e64 v253, v69, v66, s[42:43]                 // 00000000C29C: D10000FD 00AA8545
	v_cndmask_b32_e64 v255, v69, v67, s[78:79]                 // 00000000C2A4: D10000FF 013A8745
	v_mul_f32_e32 v128, v19, v128                              // 00000000C2AC: 0B010113
	v_mul_f32_e32 v129, v19, v129                              // 00000000C2B0: 0B030313
	v_mul_f32_e32 v130, v19, v130                              // 00000000C2B4: 0B050513
	v_mul_f32_e32 v131, v19, v131                              // 00000000C2B8: 0B070713
	v_mul_f32_e32 v132, v19, v132                              // 00000000C2BC: 0B090913
	v_mul_f32_e32 v133, v19, v133                              // 00000000C2C0: 0B0B0B13
	v_mul_f32_e32 v134, v19, v134                              // 00000000C2C4: 0B0D0D13
	v_mul_f32_e32 v135, v19, v135                              // 00000000C2C8: 0B0F0F13
	v_mul_f32_e32 v136, v19, v136                              // 00000000C2CC: 0B111113
	v_mul_f32_e32 v137, v19, v137                              // 00000000C2D0: 0B131313
	v_mul_f32_e32 v138, v19, v138                              // 00000000C2D4: 0B151513
	v_mul_f32_e32 v139, v19, v139                              // 00000000C2D8: 0B171713
	v_mul_f32_e32 v140, v19, v140                              // 00000000C2DC: 0B191913
	v_mul_f32_e32 v141, v19, v141                              // 00000000C2E0: 0B1B1B13
	v_mul_f32_e32 v142, v19, v142                              // 00000000C2E4: 0B1D1D13
	v_mul_f32_e32 v143, v19, v143                              // 00000000C2E8: 0B1F1F13
	v_mul_f32_dpp v128, v248, v128 quad_perm:[0,0,0,0] row_mask:0xf bank_mask:0xf// 00000000C2EC: 0B0100FA FF0000F8
	v_mul_f32_dpp v129, v248, v129 quad_perm:[1,1,1,1] row_mask:0xf bank_mask:0xf// 00000000C2F4: 0B0302FA FF0055F8
	v_mul_f32_dpp v130, v248, v130 quad_perm:[2,2,2,2] row_mask:0xf bank_mask:0xf// 00000000C2FC: 0B0504FA FF00AAF8
	v_mul_f32_dpp v131, v248, v131 quad_perm:[3,3,3,3] row_mask:0xf bank_mask:0xf// 00000000C304: 0B0706FA FF00FFF8
	v_mul_f32_dpp v132, v249, v132 quad_perm:[0,0,0,0] row_mask:0xf bank_mask:0xf// 00000000C30C: 0B0908FA FF0000F9
	v_mul_f32_dpp v133, v249, v133 quad_perm:[1,1,1,1] row_mask:0xf bank_mask:0xf// 00000000C314: 0B0B0AFA FF0055F9
	v_mul_f32_dpp v134, v249, v134 quad_perm:[2,2,2,2] row_mask:0xf bank_mask:0xf// 00000000C31C: 0B0D0CFA FF00AAF9
	v_mul_f32_dpp v135, v249, v135 quad_perm:[3,3,3,3] row_mask:0xf bank_mask:0xf// 00000000C324: 0B0F0EFA FF00FFF9
	v_mul_f32_dpp v136, v250, v136 quad_perm:[0,0,0,0] row_mask:0xf bank_mask:0xf// 00000000C32C: 0B1110FA FF0000FA
	v_mul_f32_dpp v137, v250, v137 quad_perm:[1,1,1,1] row_mask:0xf bank_mask:0xf// 00000000C334: 0B1312FA FF0055FA
	v_mul_f32_dpp v138, v250, v138 quad_perm:[2,2,2,2] row_mask:0xf bank_mask:0xf// 00000000C33C: 0B1514FA FF00AAFA
	v_mul_f32_dpp v139, v250, v139 quad_perm:[3,3,3,3] row_mask:0xf bank_mask:0xf// 00000000C344: 0B1716FA FF00FFFA
	v_mul_f32_dpp v140, v251, v140 quad_perm:[0,0,0,0] row_mask:0xf bank_mask:0xf// 00000000C34C: 0B1918FA FF0000FB
	v_mul_f32_dpp v141, v251, v141 quad_perm:[1,1,1,1] row_mask:0xf bank_mask:0xf// 00000000C354: 0B1B1AFA FF0055FB
	v_mul_f32_dpp v142, v251, v142 quad_perm:[2,2,2,2] row_mask:0xf bank_mask:0xf// 00000000C35C: 0B1D1CFA FF00AAFB
	v_mul_f32_dpp v143, v251, v143 quad_perm:[3,3,3,3] row_mask:0xf bank_mask:0xf// 00000000C364: 0B1F1EFA FF00FFFB
	s_cmp_le_i32 s90, s89                                      // 00000000C36C: BF05595A
	s_cbranch_scc1 label_28CE                                  // 00000000C370: BF850071
	v_mov_b32_e32 v66, 0xff800000                              // 00000000C374: 7E8402FF FF800000
	s_mov_b32 s60, s90                                         // 00000000C37C: BEBC005A
	s_add_u32 s61, s89, 0xff                                   // 00000000C380: 803DFF59 000000FF
	v_mov_b32_e32 v64, s61                                     // 00000000C388: 7E80023D
	v_lshrrev_b32_e32 v240, 4, v0                              // 00000000C38C: 21E00084
	v_mul_i32_i24_e32 v240, 4, v240                            // 00000000C390: 0DE1E084
	v_add_u32_e32 v240, s60, v240                              // 00000000C394: 69E1E03C
	s_mov_b32 s61, 1                                           // 00000000C398: BEBD0081
	s_mul_i32 s60, 16, s7                                      // 00000000C39C: 923C0790
	v_sub_u32_e64 v240, v240, s61                              // 00000000C3A0: D13500F0 00007BF0
	v_add_u32_e32 v240, s60, v240                              // 00000000C3A8: 69E1E03C
	v_add_u32_e32 v241, 1, v240                                // 00000000C3AC: 69E3E081
	v_add_u32_e32 v242, 2, v240                                // 00000000C3B0: 69E5E082
	v_add_u32_e32 v243, 3, v240                                // 00000000C3B4: 69E7E083
	v_cmp_le_u32_e64 s[40:41], v240, v64                       // 00000000C3B8: D0CB0028 000281F0
	v_add_u32_e32 v240, 64, v240                               // 00000000C3C0: 69E1E0C0
	s_nop 0                                                    // 00000000C3C4: BF800000
	v_cndmask_b32_e64 v128, v66, v128, s[40:41]                // 00000000C3C8: D1000080 00A30142
	v_cmp_le_u32_e64 s[40:41], v241, v64                       // 00000000C3D0: D0CB0028 000281F1
	v_add_u32_e32 v241, 64, v241                               // 00000000C3D8: 69E3E2C0
	s_nop 0                                                    // 00000000C3DC: BF800000
	v_cndmask_b32_e64 v129, v66, v129, s[40:41]                // 00000000C3E0: D1000081 00A30342
	v_cmp_le_u32_e64 s[40:41], v242, v64                       // 00000000C3E8: D0CB0028 000281F2
	v_add_u32_e32 v242, 64, v242                               // 00000000C3F0: 69E5E4C0
	s_nop 0                                                    // 00000000C3F4: BF800000
	v_cndmask_b32_e64 v130, v66, v130, s[40:41]                // 00000000C3F8: D1000082 00A30542
	v_cmp_le_u32_e64 s[40:41], v243, v64                       // 00000000C400: D0CB0028 000281F3
	v_add_u32_e32 v243, 64, v243                               // 00000000C408: 69E7E6C0
	s_nop 0                                                    // 00000000C40C: BF800000
	v_cndmask_b32_e64 v131, v66, v131, s[40:41]                // 00000000C410: D1000083 00A30742
	v_cmp_le_u32_e64 s[40:41], v240, v64                       // 00000000C418: D0CB0028 000281F0
	v_add_u32_e32 v240, 64, v240                               // 00000000C420: 69E1E0C0
	s_nop 0                                                    // 00000000C424: BF800000
	v_cndmask_b32_e64 v132, v66, v132, s[40:41]                // 00000000C428: D1000084 00A30942
	v_cmp_le_u32_e64 s[40:41], v241, v64                       // 00000000C430: D0CB0028 000281F1
	v_add_u32_e32 v241, 64, v241                               // 00000000C438: 69E3E2C0
	s_nop 0                                                    // 00000000C43C: BF800000
	v_cndmask_b32_e64 v133, v66, v133, s[40:41]                // 00000000C440: D1000085 00A30B42
	v_cmp_le_u32_e64 s[40:41], v242, v64                       // 00000000C448: D0CB0028 000281F2
	v_add_u32_e32 v242, 64, v242                               // 00000000C450: 69E5E4C0
	s_nop 0                                                    // 00000000C454: BF800000
	v_cndmask_b32_e64 v134, v66, v134, s[40:41]                // 00000000C458: D1000086 00A30D42
	v_cmp_le_u32_e64 s[40:41], v243, v64                       // 00000000C460: D0CB0028 000281F3
	v_add_u32_e32 v243, 64, v243                               // 00000000C468: 69E7E6C0
	s_nop 0                                                    // 00000000C46C: BF800000
	v_cndmask_b32_e64 v135, v66, v135, s[40:41]                // 00000000C470: D1000087 00A30F42
	v_cmp_le_u32_e64 s[40:41], v240, v64                       // 00000000C478: D0CB0028 000281F0
	v_add_u32_e32 v240, 64, v240                               // 00000000C480: 69E1E0C0
	s_nop 0                                                    // 00000000C484: BF800000
	v_cndmask_b32_e64 v136, v66, v136, s[40:41]                // 00000000C488: D1000088 00A31142
	v_cmp_le_u32_e64 s[40:41], v241, v64                       // 00000000C490: D0CB0028 000281F1
	v_add_u32_e32 v241, 64, v241                               // 00000000C498: 69E3E2C0
	s_nop 0                                                    // 00000000C49C: BF800000
	v_cndmask_b32_e64 v137, v66, v137, s[40:41]                // 00000000C4A0: D1000089 00A31342
	v_cmp_le_u32_e64 s[40:41], v242, v64                       // 00000000C4A8: D0CB0028 000281F2
	v_add_u32_e32 v242, 64, v242                               // 00000000C4B0: 69E5E4C0
	s_nop 0                                                    // 00000000C4B4: BF800000
	v_cndmask_b32_e64 v138, v66, v138, s[40:41]                // 00000000C4B8: D100008A 00A31542
	v_cmp_le_u32_e64 s[40:41], v243, v64                       // 00000000C4C0: D0CB0028 000281F3
	v_add_u32_e32 v243, 64, v243                               // 00000000C4C8: 69E7E6C0
	s_nop 0                                                    // 00000000C4CC: BF800000
	v_cndmask_b32_e64 v139, v66, v139, s[40:41]                // 00000000C4D0: D100008B 00A31742
	v_cmp_le_u32_e64 s[40:41], v240, v64                       // 00000000C4D8: D0CB0028 000281F0
	v_add_u32_e32 v240, 64, v240                               // 00000000C4E0: 69E1E0C0
	s_nop 0                                                    // 00000000C4E4: BF800000
	v_cndmask_b32_e64 v140, v66, v140, s[40:41]                // 00000000C4E8: D100008C 00A31942
	v_cmp_le_u32_e64 s[40:41], v241, v64                       // 00000000C4F0: D0CB0028 000281F1
	v_add_u32_e32 v241, 64, v241                               // 00000000C4F8: 69E3E2C0
	s_nop 0                                                    // 00000000C4FC: BF800000
	v_cndmask_b32_e64 v141, v66, v141, s[40:41]                // 00000000C500: D100008D 00A31B42
	v_cmp_le_u32_e64 s[40:41], v242, v64                       // 00000000C508: D0CB0028 000281F2
	v_add_u32_e32 v242, 64, v242                               // 00000000C510: 69E5E4C0
	s_nop 0                                                    // 00000000C514: BF800000
	v_cndmask_b32_e64 v142, v66, v142, s[40:41]                // 00000000C518: D100008E 00A31D42
	v_cmp_le_u32_e64 s[40:41], v243, v64                       // 00000000C520: D0CB0028 000281F3
	v_add_u32_e32 v243, 64, v243                               // 00000000C528: 69E7E6C0
	s_nop 0                                                    // 00000000C52C: BF800000
	v_cndmask_b32_e64 v143, v66, v143, s[40:41]                // 00000000C530: D100008F 00A31F42

000000000000c538 <label_28CE>:
	s_add_u32 s90, s91, s90                                    // 00000000C538: 805A5A5B
	v_mov_b32_e32 v48, v128                                    // 00000000C53C: 7E600380
	v_max3_f32 v48, v128, v129, v48                            // 00000000C540: D1D30030 04C30380
	v_max3_f32 v48, v130, v131, v48                            // 00000000C548: D1D30030 04C30782
	v_max3_f32 v48, v132, v133, v48                            // 00000000C550: D1D30030 04C30B84
	v_max3_f32 v48, v134, v135, v48                            // 00000000C558: D1D30030 04C30F86
	v_max3_f32 v48, v136, v137, v48                            // 00000000C560: D1D30030 04C31388
	v_max3_f32 v48, v138, v139, v48                            // 00000000C568: D1D30030 04C3178A
	v_max3_f32 v48, v140, v141, v48                            // 00000000C570: D1D30030 04C31B8C
	v_max3_f32 v48, v142, v143, v48                            // 00000000C578: D1D30030 04C31F8E
	ds_write_b32 v8, v48 offset:16896                          // 00000000C580: D81A4200 00003008
	v_mul_f32_e32 v216, v50, v216                              // 00000000C588: 0BB1B132
	v_mul_f32_e32 v217, v50, v217                              // 00000000C58C: 0BB3B332
	v_mul_f32_e32 v218, v50, v218                              // 00000000C590: 0BB5B532
	v_mul_f32_e32 v219, v50, v219                              // 00000000C594: 0BB7B732
	v_mul_f32_e32 v220, v50, v220                              // 00000000C598: 0BB9B932
	v_mul_f32_e32 v221, v50, v221                              // 00000000C59C: 0BBBBB32
	v_mul_f32_e32 v222, v50, v222                              // 00000000C5A0: 0BBDBD32
	v_mul_f32_e32 v223, v50, v223                              // 00000000C5A4: 0BBFBF32
	s_waitcnt lgkmcnt(0)                                       // 00000000C5A8: BF8CC07F
	s_barrier                                                  // 00000000C5AC: BF8A0000
	ds_read_b32 v64, v7 offset:16896                           // 00000000C5B0: D86C4200 40000007
	ds_read_b32 v65, v7 offset:16960                           // 00000000C5B8: D86C4240 41000007
	ds_read_b32 v66, v7 offset:17024                           // 00000000C5C0: D86C4280 42000007
	ds_read_b32 v67, v7 offset:17088                           // 00000000C5C8: D86C42C0 43000007
	ds_read_b32 v68, v7 offset:17152                           // 00000000C5D0: D86C4300 44000007
	ds_read_b32 v69, v7 offset:17216                           // 00000000C5D8: D86C4340 45000007
	ds_read_b32 v70, v7 offset:17280                           // 00000000C5E0: D86C4380 46000007
	ds_read_b32 v71, v7 offset:17344                           // 00000000C5E8: D86C43C0 47000007
	ds_read_b32 v72, v7 offset:17408                           // 00000000C5F0: D86C4400 48000007
	ds_read_b32 v73, v7 offset:17472                           // 00000000C5F8: D86C4440 49000007
	ds_read_b32 v74, v7 offset:17536                           // 00000000C600: D86C4480 4A000007
	ds_read_b32 v75, v7 offset:17600                           // 00000000C608: D86C44C0 4B000007
	ds_read_b32 v76, v7 offset:17664                           // 00000000C610: D86C4500 4C000007
	ds_read_b32 v77, v7 offset:17728                           // 00000000C618: D86C4540 4D000007
	ds_read_b32 v78, v7 offset:17792                           // 00000000C620: D86C4580 4E000007
	ds_read_b32 v79, v7 offset:17856                           // 00000000C628: D86C45C0 4F000007
	v_mul_f32_e32 v184, v45, v184                              // 00000000C630: 0B71712D
	v_mul_f32_e32 v185, v45, v185                              // 00000000C634: 0B73732D
	v_mul_f32_e32 v186, v45, v186                              // 00000000C638: 0B75752D
	v_mul_f32_e32 v187, v45, v187                              // 00000000C63C: 0B77772D
	v_mul_f32_e32 v188, v45, v188                              // 00000000C640: 0B79792D
	v_mul_f32_e32 v189, v45, v189                              // 00000000C644: 0B7B7B2D
	v_mul_f32_e32 v190, v45, v190                              // 00000000C648: 0B7D7D2D
	v_mul_f32_e32 v191, v45, v191                              // 00000000C64C: 0B7F7F2D
	s_waitcnt lgkmcnt(0)                                       // 00000000C650: BF8CC07F
	v_max3_f32 v48, v64, v65, v48                              // 00000000C654: D1D30030 04C28340
	v_max3_f32 v48, v66, v67, v48                              // 00000000C65C: D1D30030 04C28742
	v_max3_f32 v48, v68, v69, v48                              // 00000000C664: D1D30030 04C28B44
	v_max3_f32 v48, v70, v71, v48                              // 00000000C66C: D1D30030 04C28F46
	v_max3_f32 v48, v72, v73, v48                              // 00000000C674: D1D30030 04C29348
	v_max3_f32 v48, v74, v75, v48                              // 00000000C67C: D1D30030 04C2974A
	v_max3_f32 v48, v76, v77, v48                              // 00000000C684: D1D30030 04C29B4C
	v_max3_f32 v48, v78, v79, v48                              // 00000000C68C: D1D30030 04C29F4E
	v_mov_b32_e32 v64, 0xff800000                              // 00000000C694: 7E8002FF FF800000
	v_cmp_eq_u32_e64 s[40:41], v64, v12                        // 00000000C69C: D0CA0028 00021940
	s_nop 1                                                    // 00000000C6A4: BF800001
	v_max_f32_e32 v15, v48, v12                                // 00000000C6A8: 161E1930
	v_mul_f32_e32 v53, s64, v15                                // 00000000C6AC: 0A6A1E40
	v_fma_f32 v128, v128, s64, -v53                            // 00000000C6B0: D1CB0080 84D48180
	v_fma_f32 v129, v129, s64, -v53                            // 00000000C6B8: D1CB0081 84D48181
	v_fma_f32 v130, v130, s64, -v53                            // 00000000C6C0: D1CB0082 84D48182
	v_fma_f32 v131, v131, s64, -v53                            // 00000000C6C8: D1CB0083 84D48183
	v_fma_f32 v132, v132, s64, -v53                            // 00000000C6D0: D1CB0084 84D48184
	v_fma_f32 v133, v133, s64, -v53                            // 00000000C6D8: D1CB0085 84D48185
	v_fma_f32 v134, v134, s64, -v53                            // 00000000C6E0: D1CB0086 84D48186
	v_fma_f32 v135, v135, s64, -v53                            // 00000000C6E8: D1CB0087 84D48187
	v_fma_f32 v136, v136, s64, -v53                            // 00000000C6F0: D1CB0088 84D48188
	v_fma_f32 v137, v137, s64, -v53                            // 00000000C6F8: D1CB0089 84D48189
	v_fma_f32 v138, v138, s64, -v53                            // 00000000C700: D1CB008A 84D4818A
	v_fma_f32 v139, v139, s64, -v53                            // 00000000C708: D1CB008B 84D4818B
	v_fma_f32 v140, v140, s64, -v53                            // 00000000C710: D1CB008C 84D4818C
	v_fma_f32 v141, v141, s64, -v53                            // 00000000C718: D1CB008D 84D4818D
	v_fma_f32 v142, v142, s64, -v53                            // 00000000C720: D1CB008E 84D4818E
	v_fma_f32 v143, v143, s64, -v53                            // 00000000C728: D1CB008F 84D4818F
	v_exp_f32_e32 v128, v128                                   // 00000000C730: 7F004180
	v_exp_f32_e32 v129, v129                                   // 00000000C734: 7F024181
	v_exp_f32_e32 v130, v130                                   // 00000000C738: 7F044182
	v_exp_f32_e32 v131, v131                                   // 00000000C73C: 7F064183
	v_exp_f32_e32 v132, v132                                   // 00000000C740: 7F084184
	v_exp_f32_e32 v133, v133                                   // 00000000C744: 7F0A4185
	v_exp_f32_e32 v134, v134                                   // 00000000C748: 7F0C4186
	v_exp_f32_e32 v135, v135                                   // 00000000C74C: 7F0E4187
	v_exp_f32_e32 v136, v136                                   // 00000000C750: 7F104188
	v_exp_f32_e32 v137, v137                                   // 00000000C754: 7F124189
	v_exp_f32_e32 v138, v138                                   // 00000000C758: 7F14418A
	v_exp_f32_e32 v139, v139                                   // 00000000C75C: 7F16418B
	v_exp_f32_e32 v140, v140                                   // 00000000C760: 7F18418C
	v_exp_f32_e32 v141, v141                                   // 00000000C764: 7F1A418D
	v_exp_f32_e32 v142, v142                                   // 00000000C768: 7F1C418E
	v_exp_f32_e32 v143, v143                                   // 00000000C76C: 7F1E418F
	v_mul_f32_dpp v240, v252, v128 quad_perm:[0,0,0,0] row_mask:0xf bank_mask:0xf// 00000000C770: 0BE100FA FF0000FC
	v_mul_f32_dpp v241, v252, v129 quad_perm:[1,1,1,1] row_mask:0xf bank_mask:0xf// 00000000C778: 0BE302FA FF0055FC
	v_mul_f32_dpp v242, v252, v130 quad_perm:[2,2,2,2] row_mask:0xf bank_mask:0xf// 00000000C780: 0BE504FA FF00AAFC
	v_mul_f32_dpp v243, v252, v131 quad_perm:[3,3,3,3] row_mask:0xf bank_mask:0xf// 00000000C788: 0BE706FA FF00FFFC
	v_mul_f32_dpp v244, v253, v132 quad_perm:[0,0,0,0] row_mask:0xf bank_mask:0xf// 00000000C790: 0BE908FA FF0000FD
	v_mul_f32_dpp v245, v253, v133 quad_perm:[1,1,1,1] row_mask:0xf bank_mask:0xf// 00000000C798: 0BEB0AFA FF0055FD
	v_mul_f32_dpp v246, v253, v134 quad_perm:[2,2,2,2] row_mask:0xf bank_mask:0xf// 00000000C7A0: 0BED0CFA FF00AAFD
	v_mul_f32_dpp v247, v253, v135 quad_perm:[3,3,3,3] row_mask:0xf bank_mask:0xf// 00000000C7A8: 0BEF0EFA FF00FFFD
	v_mul_f32_dpp v248, v254, v136 quad_perm:[0,0,0,0] row_mask:0xf bank_mask:0xf// 00000000C7B0: 0BF110FA FF0000FE
	v_mul_f32_dpp v249, v254, v137 quad_perm:[1,1,1,1] row_mask:0xf bank_mask:0xf// 00000000C7B8: 0BF312FA FF0055FE
	v_mul_f32_dpp v250, v254, v138 quad_perm:[2,2,2,2] row_mask:0xf bank_mask:0xf// 00000000C7C0: 0BF514FA FF00AAFE
	v_mul_f32_dpp v251, v254, v139 quad_perm:[3,3,3,3] row_mask:0xf bank_mask:0xf// 00000000C7C8: 0BF716FA FF00FFFE
	v_mul_f32_dpp v252, v255, v140 quad_perm:[0,0,0,0] row_mask:0xf bank_mask:0xf// 00000000C7D0: 0BF918FA FF0000FF
	v_mul_f32_dpp v253, v255, v141 quad_perm:[1,1,1,1] row_mask:0xf bank_mask:0xf// 00000000C7D8: 0BFB1AFA FF0055FF
	v_mul_f32_dpp v254, v255, v142 quad_perm:[2,2,2,2] row_mask:0xf bank_mask:0xf// 00000000C7E0: 0BFD1CFA FF00AAFF
	v_mul_f32_dpp v255, v255, v143 quad_perm:[3,3,3,3] row_mask:0xf bank_mask:0xf// 00000000C7E8: 0BFF1EFA FF00FFFF
	v_mov_b32_e32 v48, 0x358637bd                              // 00000000C7F0: 7E6002FF 358637BD
	v_max3_f32 v48, |v240|, |v241|, v48                        // 00000000C7F8: D1D30330 04C3E3F0
	v_max3_f32 v48, |v242|, |v243|, v48                        // 00000000C800: D1D30330 04C3E7F2
	v_max3_f32 v48, |v244|, |v245|, v48                        // 00000000C808: D1D30330 04C3EBF4
	v_max3_f32 v48, |v246|, |v247|, v48                        // 00000000C810: D1D30330 04C3EFF6
	v_max3_f32 v48, |v248|, |v249|, v48                        // 00000000C818: D1D30330 04C3F3F8
	v_max3_f32 v48, |v250|, |v251|, v48                        // 00000000C820: D1D30330 04C3F7FA
	v_max3_f32 v48, |v252|, |v253|, v48                        // 00000000C828: D1D30330 04C3FBFC
	v_max3_f32 v48, |v254|, |v255|, v48                        // 00000000C830: D1D30330 04C3FFFE
	ds_write_b32 v8, v48 offset:20992                          // 00000000C838: D81A5200 00003008
	v_sub_f32_e32 v50, v12, v15                                // 00000000C840: 04641F0C
	v_cndmask_b32_e64 v50, v50, 0, s[40:41]                    // 00000000C844: D1000032 00A10132
	v_mov_b32_e32 v12, v15                                     // 00000000C84C: 7E18030F
	v_mul_f32_e32 v50, s64, v50                                // 00000000C850: 0A646440
	v_exp_f32_e32 v50, v50                                     // 00000000C854: 7E644132
	s_waitcnt lgkmcnt(0)                                       // 00000000C858: BF8CC07F
	s_barrier                                                  // 00000000C85C: BF8A0000
	ds_read_b32 v64, v7 offset:20992                           // 00000000C860: D86C5200 40000007
	ds_read_b32 v65, v7 offset:21056                           // 00000000C868: D86C5240 41000007
	ds_read_b32 v66, v7 offset:21120                           // 00000000C870: D86C5280 42000007
	ds_read_b32 v67, v7 offset:21184                           // 00000000C878: D86C52C0 43000007
	ds_read_b32 v68, v7 offset:21248                           // 00000000C880: D86C5300 44000007
	ds_read_b32 v69, v7 offset:21312                           // 00000000C888: D86C5340 45000007
	ds_read_b32 v70, v7 offset:21376                           // 00000000C890: D86C5380 46000007
	ds_read_b32 v71, v7 offset:21440                           // 00000000C898: D86C53C0 47000007
	ds_read_b32 v72, v7 offset:21504                           // 00000000C8A0: D86C5400 48000007
	ds_read_b32 v73, v7 offset:21568                           // 00000000C8A8: D86C5440 49000007
	ds_read_b32 v74, v7 offset:21632                           // 00000000C8B0: D86C5480 4A000007
	ds_read_b32 v75, v7 offset:21696                           // 00000000C8B8: D86C54C0 4B000007
	ds_read_b32 v76, v7 offset:21760                           // 00000000C8C0: D86C5500 4C000007
	ds_read_b32 v77, v7 offset:21824                           // 00000000C8C8: D86C5540 4D000007
	ds_read_b32 v78, v7 offset:21888                           // 00000000C8D0: D86C5580 4E000007
	ds_read_b32 v79, v7 offset:21952                           // 00000000C8D8: D86C55C0 4F000007
	v_mul_f32_e32 v39, v50, v39                                // 00000000C8E0: 0A4E4F32
	v_mov_b32_e32 v15, v128                                    // 00000000C8E4: 7E1E0380
	v_add_f32_e32 v15, v129, v15                               // 00000000C8E8: 021E1F81
	v_add_f32_e32 v15, v130, v15                               // 00000000C8EC: 021E1F82
	v_add_f32_e32 v15, v131, v15                               // 00000000C8F0: 021E1F83
	v_add_f32_e32 v15, v132, v15                               // 00000000C8F4: 021E1F84
	v_add_f32_e32 v15, v133, v15                               // 00000000C8F8: 021E1F85
	v_add_f32_e32 v15, v134, v15                               // 00000000C8FC: 021E1F86
	v_add_f32_e32 v15, v135, v15                               // 00000000C900: 021E1F87
	v_add_f32_e32 v15, v136, v15                               // 00000000C904: 021E1F88
	v_add_f32_e32 v15, v137, v15                               // 00000000C908: 021E1F89
	v_add_f32_e32 v15, v138, v15                               // 00000000C90C: 021E1F8A
	v_add_f32_e32 v15, v139, v15                               // 00000000C910: 021E1F8B
	v_add_f32_e32 v15, v140, v15                               // 00000000C914: 021E1F8C
	v_add_f32_e32 v15, v141, v15                               // 00000000C918: 021E1F8D
	v_add_f32_e32 v15, v142, v15                               // 00000000C91C: 021E1F8E
	v_add_f32_e32 v15, v143, v15                               // 00000000C920: 021E1F8F
	v_add_f32_e32 v39, v15, v39                                // 00000000C924: 024E4F0F
	s_waitcnt lgkmcnt(0)                                       // 00000000C928: BF8CC07F
	v_max3_f32 v48, |v64|, |v65|, v48                          // 00000000C92C: D1D30330 04C28340
	v_max3_f32 v48, |v66|, |v67|, v48                          // 00000000C934: D1D30330 04C28742
	v_max3_f32 v48, |v68|, |v69|, v48                          // 00000000C93C: D1D30330 04C28B44
	v_max3_f32 v48, |v70|, |v71|, v48                          // 00000000C944: D1D30330 04C28F46
	v_max3_f32 v48, |v72|, |v73|, v48                          // 00000000C94C: D1D30330 04C29348
	v_max3_f32 v48, |v74|, |v75|, v48                          // 00000000C954: D1D30330 04C2974A
	v_max3_f32 v48, |v76|, |v77|, v48                          // 00000000C95C: D1D30330 04C29B4C
	v_max3_f32 v48, |v78|, |v79|, v48                          // 00000000C964: D1D30330 04C29F4E
	s_nop 2                                                    // 00000000C96C: BF800002
	v_rcp_f32_e32 v48, v48                                     // 00000000C970: 7E604530
	s_nop 1                                                    // 00000000C974: BF800001
	v_mul_f32_e32 v48, 0x43e00000, v48                         // 00000000C978: 0A6060FF 43E00000
	v_mul_f32_e32 v128, v48, v240                              // 00000000C980: 0B01E130
	v_mul_f32_e32 v129, v48, v241                              // 00000000C984: 0B03E330
	v_mul_f32_e32 v130, v48, v242                              // 00000000C988: 0B05E530
	v_mul_f32_e32 v131, v48, v243                              // 00000000C98C: 0B07E730
	v_mul_f32_e32 v132, v48, v244                              // 00000000C990: 0B09E930
	v_mul_f32_e32 v133, v48, v245                              // 00000000C994: 0B0BEB30
	v_mul_f32_e32 v134, v48, v246                              // 00000000C998: 0B0DED30
	v_mul_f32_e32 v135, v48, v247                              // 00000000C99C: 0B0FEF30
	v_mul_f32_e32 v136, v48, v248                              // 00000000C9A0: 0B11F130
	v_mul_f32_e32 v137, v48, v249                              // 00000000C9A4: 0B13F330
	v_mul_f32_e32 v138, v48, v250                              // 00000000C9A8: 0B15F530
	v_mul_f32_e32 v139, v48, v251                              // 00000000C9AC: 0B17F730
	v_mul_f32_e32 v140, v48, v252                              // 00000000C9B0: 0B19F930
	v_mul_f32_e32 v141, v48, v253                              // 00000000C9B4: 0B1BFB30
	v_mul_f32_e32 v142, v48, v254                              // 00000000C9B8: 0B1DFD30
	v_mul_f32_e32 v143, v48, v255                              // 00000000C9BC: 0B1FFF30
	v_cvt_pk_fp8_f32 v128, v128, v129                          // 00000000C9C0: D2A20080 00030380
	v_cvt_pk_fp8_f32 v128, v130, v131 op_sel:[0,0,1]           // 00000000C9C8: D2A24080 00030782
	v_cvt_pk_fp8_f32 v129, v132, v133                          // 00000000C9D0: D2A20081 00030B84
	v_cvt_pk_fp8_f32 v129, v134, v135 op_sel:[0,0,1]           // 00000000C9D8: D2A24081 00030F86
	v_cvt_pk_fp8_f32 v130, v136, v137                          // 00000000C9E0: D2A20082 00031388
	v_cvt_pk_fp8_f32 v130, v138, v139 op_sel:[0,0,1]           // 00000000C9E8: D2A24082 0003178A
	v_cvt_pk_fp8_f32 v131, v140, v141                          // 00000000C9F0: D2A20083 00031B8C
	v_cvt_pk_fp8_f32 v131, v142, v143 op_sel:[0,0,1]           // 00000000C9F8: D2A24083 00031F8E
	ds_write_b32 v10, v128 offset:29184                        // 00000000CA00: D81A7200 0000800A
	ds_write_b32 v10, v129 offset:30208                        // 00000000CA08: D81A7600 0000810A
	ds_write_b32 v10, v130 offset:31232                        // 00000000CA10: D81A7A00 0000820A
	ds_write_b32 v10, v131 offset:32256                        // 00000000CA18: D81A7E00 0000830A
	v_add_f32_e32 v216, v216, v184                             // 00000000CA20: 03B171D8
	v_add_f32_e32 v217, v217, v185                             // 00000000CA24: 03B373D9
	v_add_f32_e32 v218, v218, v186                             // 00000000CA28: 03B575DA
	v_add_f32_e32 v219, v219, v187                             // 00000000CA2C: 03B777DB
	v_add_f32_e32 v220, v220, v188                             // 00000000CA30: 03B979DC
	v_add_f32_e32 v221, v221, v189                             // 00000000CA34: 03BB7BDD
	v_add_f32_e32 v222, v222, v190                             // 00000000CA38: 03BD7DDE
	v_add_f32_e32 v223, v223, v191                             // 00000000CA3C: 03BF7FDF
	v_rcp_f32_e32 v45, v48                                     // 00000000CA40: 7E5A4530
	s_waitcnt lgkmcnt(0)                                       // 00000000CA44: BF8CC07F
	s_barrier                                                  // 00000000CA48: BF8A0000
	ds_read_b64 v[128:129], v9 offset:29184                    // 00000000CA4C: D8EC7200 80000009
	ds_read_b64 v[130:131], v9 offset:29312                    // 00000000CA54: D8EC7280 82000009
	ds_read_b64 v[132:133], v9 offset:30208                    // 00000000CA5C: D8EC7600 84000009
	ds_read_b64 v[134:135], v9 offset:30336                    // 00000000CA64: D8EC7680 86000009
	ds_read_b64 v[136:137], v9 offset:31232                    // 00000000CA6C: D8EC7A00 88000009
	ds_read_b64 v[138:139], v9 offset:31360                    // 00000000CA74: D8EC7A80 8A000009
	ds_read_b64 v[140:141], v9 offset:32256                    // 00000000CA7C: D8EC7E00 8C000009
	ds_read_b64 v[142:143], v9 offset:32384                    // 00000000CA84: D8EC7E80 8E000009
	s_waitcnt vmcnt(15)                                        // 00000000CA8C: BF8C0F7F
	v_mfma_f32_16x16x32_fp8_fp8 v[176:179], a[96:97], v[112:113], 0// 00000000CA90: D3F300B0 0A02E160
	buffer_load_dwordx4 a[80:83], v30, s[20:23], 0 offen offset:1024// 00000000CA98: E05C1400 8085501E
	v_mfma_f32_16x16x32_fp8_fp8 v[176:179], a[98:99], v[114:115], v[176:179]// 00000000CAA0: D3F300B0 0EC2E562
	v_mfma_f32_16x16x32_fp8_fp8 v[176:179], a[100:101], v[116:117], v[176:179]// 00000000CAA8: D3F300B0 0EC2E964
	v_mfma_f32_16x16x32_fp8_fp8 v[176:179], a[102:103], v[118:119], v[176:179]// 00000000CAB0: D3F300B0 0EC2ED66
	v_mfma_f32_16x16x32_fp8_fp8 v[176:179], a[104:105], v[120:121], v[176:179]// 00000000CAB8: D3F300B0 0EC2F168
	buffer_load_dwordx4 a[84:87], v31, s[20:23], 0 offen offset:1024// 00000000CAC0: E05C1400 8085541F
	v_mfma_f32_16x16x32_fp8_fp8 v[176:179], a[106:107], v[122:123], v[176:179]// 00000000CAC8: D3F300B0 0EC2F56A
	v_mfma_f32_16x16x32_fp8_fp8 v[176:179], a[108:109], v[124:125], v[176:179]// 00000000CAD0: D3F300B0 0EC2F96C
	v_mfma_f32_16x16x32_fp8_fp8 v[176:179], a[110:111], v[126:127], v[176:179]// 00000000CAD8: D3F300B0 0EC2FD6E
	v_mfma_f32_16x16x32_fp8_fp8 v[180:183], a[112:113], v[112:113], 0// 00000000CAE0: D3F300B4 0A02E170
	buffer_load_dwordx4 a[88:91], v32, s[20:23], 0 offen offset:1024// 00000000CAE8: E05C1400 80855820
	v_mfma_f32_16x16x32_fp8_fp8 v[180:183], a[114:115], v[114:115], v[180:183]// 00000000CAF0: D3F300B4 0ED2E572
	v_mfma_f32_16x16x32_fp8_fp8 v[180:183], a[116:117], v[116:117], v[180:183]// 00000000CAF8: D3F300B4 0ED2E974
	v_mfma_f32_16x16x32_fp8_fp8 v[180:183], a[118:119], v[118:119], v[180:183]// 00000000CB00: D3F300B4 0ED2ED76
	v_mfma_f32_16x16x32_fp8_fp8 v[180:183], a[120:121], v[120:121], v[180:183]// 00000000CB08: D3F300B4 0ED2F178
	buffer_load_dwordx4 a[92:95], v33, s[20:23], 0 offen offset:1024// 00000000CB10: E05C1400 80855C21
	v_mfma_f32_16x16x32_fp8_fp8 v[180:183], a[122:123], v[122:123], v[180:183]// 00000000CB18: D3F300B4 0ED2F57A
	v_mfma_f32_16x16x32_fp8_fp8 v[180:183], a[124:125], v[124:125], v[180:183]// 00000000CB20: D3F300B4 0ED2F97C
	s_lshr_b32 s57, s70, 4                                     // 00000000CB28: 8F398446
	s_add_u32 s57, 48, s57                                     // 00000000CB2C: 803939B0
	v_mfma_f32_16x16x32_fp8_fp8 v[180:183], a[126:127], v[126:127], v[180:183]// 00000000CB30: D3F300B4 0ED2FD7E
	s_cmp_ge_u32 s57, s73                                      // 00000000CB38: BF094939
	s_cselect_b32 s56, 0, s56                                  // 00000000CB3C: 85383880
	v_mfma_f32_16x16x32_fp8_fp8 v[184:187], a[96:97], v[128:129], 0// 00000000CB40: D3F300B8 0A030160
	v_mfma_f32_16x16x32_fp8_fp8 v[184:187], a[98:99], v[130:131], v[184:187]// 00000000CB48: D3F300B8 0EE30562
	v_mfma_f32_16x16x32_fp8_fp8 v[184:187], a[100:101], v[132:133], v[184:187]// 00000000CB50: D3F300B8 0EE30964
	v_mfma_f32_16x16x32_fp8_fp8 v[184:187], a[102:103], v[134:135], v[184:187]// 00000000CB58: D3F300B8 0EE30D66
	v_mfma_f32_16x16x32_fp8_fp8 v[184:187], a[104:105], v[136:137], v[184:187]// 00000000CB60: D3F300B8 0EE31168
	v_mfma_f32_16x16x32_fp8_fp8 v[184:187], a[106:107], v[138:139], v[184:187]// 00000000CB68: D3F300B8 0EE3156A
	v_mfma_f32_16x16x32_fp8_fp8 v[184:187], a[108:109], v[140:141], v[184:187]// 00000000CB70: D3F300B8 0EE3196C
	v_mfma_f32_16x16x32_fp8_fp8 v[184:187], a[110:111], v[142:143], v[184:187]// 00000000CB78: D3F300B8 0EE31D6E
	v_mfma_f32_16x16x32_fp8_fp8 v[188:191], a[112:113], v[128:129], 0// 00000000CB80: D3F300BC 0A030170
	v_mfma_f32_16x16x32_fp8_fp8 v[188:191], a[114:115], v[130:131], v[188:191]// 00000000CB88: D3F300BC 0EF30572
	v_mfma_f32_16x16x32_fp8_fp8 v[188:191], a[116:117], v[132:133], v[188:191]// 00000000CB90: D3F300BC 0EF30974
	v_mfma_f32_16x16x32_fp8_fp8 v[188:191], a[118:119], v[134:135], v[188:191]// 00000000CB98: D3F300BC 0EF30D76
	v_mfma_f32_16x16x32_fp8_fp8 v[188:191], a[120:121], v[136:137], v[188:191]// 00000000CBA0: D3F300BC 0EF31178
	v_mfma_f32_16x16x32_fp8_fp8 v[188:191], a[122:123], v[138:139], v[188:191]// 00000000CBA8: D3F300BC 0EF3157A
	v_mfma_f32_16x16x32_fp8_fp8 v[188:191], a[124:125], v[140:141], v[188:191]// 00000000CBB0: D3F300BC 0EF3197C
	v_mfma_f32_16x16x32_fp8_fp8 v[188:191], a[126:127], v[142:143], v[188:191]// 00000000CBB8: D3F300BC 0EF31D7E
	v_add_u32_e32 v1, s56, v1                                  // 00000000CBC0: 68020238
	s_addk_i32 s70, 0x100                                      // 00000000CBC4: B7460100
	s_cmp_lt_i32 s70, s71                                      // 00000000CBC8: BF044746
	s_cbranch_scc0 label_2027                                  // 00000000CBCC: BF84F5B3
	s_branch label_202A                                        // 00000000CBD0: BF82F5B5

000000000000cbd4 <label_2A75>:
	s_lshr_b32 s60, s71, 4                                     // 00000000CBD4: 8F3C8447
	s_cmp_eq_i32 s60, s73                                      // 00000000CBD8: BF00493C
	s_cbranch_scc1 label_35FE                                  // 00000000CBDC: BF850B86
	s_lshr_b32 s60, s71, 8                                     // 00000000CBE0: 8F3C8847
	s_and_b32 s60, s60, 1                                      // 00000000CBE4: 863C813C
	s_cmp_eq_i32 s60, 1                                        // 00000000CBE8: BF00813C
	s_cbranch_scc1 label_303D                                  // 00000000CBEC: BF8505C1
	s_waitcnt vmcnt(8) lgkmcnt(0)                              // 00000000CBF0: BF8C0078
	s_barrier                                                  // 00000000CBF4: BF8A0000
	v_mfma_f32_16x16x32_fp8_fp8 v[112:115], a[0:1], v[80:81], 0// 00000000CBF8: D3F30070 0A02A100
	v_mfma_f32_16x16x32_fp8_fp8 v[112:115], a[2:3], v[82:83], v[112:115]// 00000000CC00: D3F30070 0DC2A502
	v_mfma_f32_16x16x32_fp8_fp8 v[112:115], a[4:5], v[84:85], v[112:115]// 00000000CC08: D3F30070 0DC2A904
	v_mfma_f32_16x16x32_fp8_fp8 v[112:115], a[6:7], v[86:87], v[112:115]// 00000000CC10: D3F30070 0DC2AD06
	v_mfma_f32_16x16x32_fp8_fp8 v[116:119], a[8:9], v[80:81], 0// 00000000CC18: D3F30074 0A02A108
	v_mfma_f32_16x16x32_fp8_fp8 v[116:119], a[10:11], v[82:83], v[116:119]// 00000000CC20: D3F30074 0DD2A50A
	v_mfma_f32_16x16x32_fp8_fp8 v[116:119], a[12:13], v[84:85], v[116:119]// 00000000CC28: D3F30074 0DD2A90C
	v_mfma_f32_16x16x32_fp8_fp8 v[116:119], a[14:15], v[86:87], v[116:119]// 00000000CC30: D3F30074 0DD2AD0E
	v_mfma_f32_16x16x32_fp8_fp8 v[120:123], a[16:17], v[80:81], 0// 00000000CC38: D3F30078 0A02A110
	v_mfma_f32_16x16x32_fp8_fp8 v[120:123], a[18:19], v[82:83], v[120:123]// 00000000CC40: D3F30078 0DE2A512
	v_mfma_f32_16x16x32_fp8_fp8 v[120:123], a[20:21], v[84:85], v[120:123]// 00000000CC48: D3F30078 0DE2A914
	v_mfma_f32_16x16x32_fp8_fp8 v[120:123], a[22:23], v[86:87], v[120:123]// 00000000CC50: D3F30078 0DE2AD16
	v_mfma_f32_16x16x32_fp8_fp8 v[124:127], a[24:25], v[80:81], 0// 00000000CC58: D3F3007C 0A02A118
	v_mfma_f32_16x16x32_fp8_fp8 v[124:127], a[26:27], v[82:83], v[124:127]// 00000000CC60: D3F3007C 0DF2A51A
	v_mfma_f32_16x16x32_fp8_fp8 v[124:127], a[28:29], v[84:85], v[124:127]// 00000000CC68: D3F3007C 0DF2A91C
	v_mfma_f32_16x16x32_fp8_fp8 v[124:127], a[30:31], v[86:87], v[124:127]// 00000000CC70: D3F3007C 0DF2AD1E
	v_mfma_f32_16x16x32_fp8_fp8 v[128:131], a[0:1], v[88:89], 0// 00000000CC78: D3F30080 0A02B100
	v_mfma_f32_16x16x32_fp8_fp8 v[128:131], a[2:3], v[90:91], v[128:131]// 00000000CC80: D3F30080 0E02B502
	v_mfma_f32_16x16x32_fp8_fp8 v[128:131], a[4:5], v[92:93], v[128:131]// 00000000CC88: D3F30080 0E02B904
	v_mfma_f32_16x16x32_fp8_fp8 v[128:131], a[6:7], v[94:95], v[128:131]// 00000000CC90: D3F30080 0E02BD06
	v_mfma_f32_16x16x32_fp8_fp8 v[132:135], a[8:9], v[88:89], 0// 00000000CC98: D3F30084 0A02B108
	v_mfma_f32_16x16x32_fp8_fp8 v[132:135], a[10:11], v[90:91], v[132:135]// 00000000CCA0: D3F30084 0E12B50A
	v_mfma_f32_16x16x32_fp8_fp8 v[132:135], a[12:13], v[92:93], v[132:135]// 00000000CCA8: D3F30084 0E12B90C
	v_mfma_f32_16x16x32_fp8_fp8 v[132:135], a[14:15], v[94:95], v[132:135]// 00000000CCB0: D3F30084 0E12BD0E
	v_mfma_f32_16x16x32_fp8_fp8 v[136:139], a[16:17], v[88:89], 0// 00000000CCB8: D3F30088 0A02B110
	v_mfma_f32_16x16x32_fp8_fp8 v[136:139], a[18:19], v[90:91], v[136:139]// 00000000CCC0: D3F30088 0E22B512
	v_mfma_f32_16x16x32_fp8_fp8 v[136:139], a[20:21], v[92:93], v[136:139]// 00000000CCC8: D3F30088 0E22B914
	v_mfma_f32_16x16x32_fp8_fp8 v[136:139], a[22:23], v[94:95], v[136:139]// 00000000CCD0: D3F30088 0E22BD16
	v_mfma_f32_16x16x32_fp8_fp8 v[140:143], a[24:25], v[88:89], 0// 00000000CCD8: D3F3008C 0A02B118
	v_mfma_f32_16x16x32_fp8_fp8 v[140:143], a[26:27], v[90:91], v[140:143]// 00000000CCE0: D3F3008C 0E32B51A
	v_mfma_f32_16x16x32_fp8_fp8 v[140:143], a[28:29], v[92:93], v[140:143]// 00000000CCE8: D3F3008C 0E32B91C
	v_mfma_f32_16x16x32_fp8_fp8 v[140:143], a[30:31], v[94:95], v[140:143]// 00000000CCF0: D3F3008C 0E32BD1E
	v_mov_b32_dpp v64, v42 row_shr:4 row_mask:0xf bank_mask:0xf// 00000000CCF8: 7E8002FA FF01142A
	v_mov_b32_dpp v65, v42 row_shl:4 row_mask:0xf bank_mask:0xf// 00000000CD00: 7E8202FA FF01042A
	v_cndmask_b32_e64 v248, v42, v64, s[44:45]                 // 00000000CD08: D10000F8 00B2812A
	v_cndmask_b32_e64 v249, v65, v42, s[44:45]                 // 00000000CD10: D10000F9 00B25541
	v_mov_b32_dpp v64, v248 row_shr:8 row_mask:0xf bank_mask:0xf// 00000000CD18: 7E8002FA FF0118F8
	v_mov_b32_dpp v65, v248 row_shl:8 row_mask:0xf bank_mask:0xf// 00000000CD20: 7E8202FA FF0108F8
	v_mov_b32_dpp v66, v249 row_shr:8 row_mask:0xf bank_mask:0xf// 00000000CD28: 7E8402FA FF0118F9
	v_mov_b32_dpp v67, v249 row_shl:8 row_mask:0xf bank_mask:0xf// 00000000CD30: 7E8602FA FF0108F9
	v_mov_b32_e32 v68, v248                                    // 00000000CD38: 7E8803F8
	v_mov_b32_e32 v69, v249                                    // 00000000CD3C: 7E8A03F9
	v_cndmask_b32_e64 v248, v68, v64, s[42:43]                 // 00000000CD40: D10000F8 00AA8144
	v_cndmask_b32_e64 v250, v68, v65, s[78:79]                 // 00000000CD48: D10000FA 013A8344
	v_cndmask_b32_e64 v249, v69, v66, s[42:43]                 // 00000000CD50: D10000F9 00AA8545
	v_cndmask_b32_e64 v251, v69, v67, s[78:79]                 // 00000000CD58: D10000FB 013A8745
	v_mov_b32_dpp v64, v57 row_shr:4 row_mask:0xf bank_mask:0xf// 00000000CD60: 7E8002FA FF011439
	v_mov_b32_dpp v65, v57 row_shl:4 row_mask:0xf bank_mask:0xf// 00000000CD68: 7E8202FA FF010439
	v_cndmask_b32_e64 v252, v57, v64, s[44:45]                 // 00000000CD70: D10000FC 00B28139
	v_cndmask_b32_e64 v253, v65, v57, s[44:45]                 // 00000000CD78: D10000FD 00B27341
	v_mov_b32_dpp v64, v252 row_shr:8 row_mask:0xf bank_mask:0xf// 00000000CD80: 7E8002FA FF0118FC
	v_mov_b32_dpp v65, v252 row_shl:8 row_mask:0xf bank_mask:0xf// 00000000CD88: 7E8202FA FF0108FC
	v_mov_b32_dpp v66, v253 row_shr:8 row_mask:0xf bank_mask:0xf// 00000000CD90: 7E8402FA FF0118FD
	v_mov_b32_dpp v67, v253 row_shl:8 row_mask:0xf bank_mask:0xf// 00000000CD98: 7E8602FA FF0108FD
	v_mov_b32_e32 v68, v252                                    // 00000000CDA0: 7E8803FC
	v_mov_b32_e32 v69, v253                                    // 00000000CDA4: 7E8A03FD
	v_cndmask_b32_e64 v252, v68, v64, s[42:43]                 // 00000000CDA8: D10000FC 00AA8144
	v_cndmask_b32_e64 v254, v68, v65, s[78:79]                 // 00000000CDB0: D10000FE 013A8344
	v_cndmask_b32_e64 v253, v69, v66, s[42:43]                 // 00000000CDB8: D10000FD 00AA8545
	v_cndmask_b32_e64 v255, v69, v67, s[78:79]                 // 00000000CDC0: D10000FF 013A8745
	v_mul_f32_e32 v112, v18, v112                              // 00000000CDC8: 0AE0E112
	v_mul_f32_e32 v113, v18, v113                              // 00000000CDCC: 0AE2E312
	v_mul_f32_e32 v114, v18, v114                              // 00000000CDD0: 0AE4E512
	v_mul_f32_e32 v115, v18, v115                              // 00000000CDD4: 0AE6E712
	v_mul_f32_e32 v116, v18, v116                              // 00000000CDD8: 0AE8E912
	v_mul_f32_e32 v117, v18, v117                              // 00000000CDDC: 0AEAEB12
	v_mul_f32_e32 v118, v18, v118                              // 00000000CDE0: 0AECED12
	v_mul_f32_e32 v119, v18, v119                              // 00000000CDE4: 0AEEEF12
	v_mul_f32_e32 v120, v18, v120                              // 00000000CDE8: 0AF0F112
	v_mul_f32_e32 v121, v18, v121                              // 00000000CDEC: 0AF2F312
	v_mul_f32_e32 v122, v18, v122                              // 00000000CDF0: 0AF4F512
	v_mul_f32_e32 v123, v18, v123                              // 00000000CDF4: 0AF6F712
	v_mul_f32_e32 v124, v18, v124                              // 00000000CDF8: 0AF8F912
	v_mul_f32_e32 v125, v18, v125                              // 00000000CDFC: 0AFAFB12
	v_mul_f32_e32 v126, v18, v126                              // 00000000CE00: 0AFCFD12
	v_mul_f32_e32 v127, v18, v127                              // 00000000CE04: 0AFEFF12
	v_mul_f32_dpp v112, v248, v112 quad_perm:[0,0,0,0] row_mask:0xf bank_mask:0xf// 00000000CE08: 0AE0E0FA FF0000F8
	v_mul_f32_dpp v113, v248, v113 quad_perm:[1,1,1,1] row_mask:0xf bank_mask:0xf// 00000000CE10: 0AE2E2FA FF0055F8
	v_mul_f32_dpp v114, v248, v114 quad_perm:[2,2,2,2] row_mask:0xf bank_mask:0xf// 00000000CE18: 0AE4E4FA FF00AAF8
	v_mul_f32_dpp v115, v248, v115 quad_perm:[3,3,3,3] row_mask:0xf bank_mask:0xf// 00000000CE20: 0AE6E6FA FF00FFF8
	v_mul_f32_dpp v116, v249, v116 quad_perm:[0,0,0,0] row_mask:0xf bank_mask:0xf// 00000000CE28: 0AE8E8FA FF0000F9
	v_mul_f32_dpp v117, v249, v117 quad_perm:[1,1,1,1] row_mask:0xf bank_mask:0xf// 00000000CE30: 0AEAEAFA FF0055F9
	v_mul_f32_dpp v118, v249, v118 quad_perm:[2,2,2,2] row_mask:0xf bank_mask:0xf// 00000000CE38: 0AECECFA FF00AAF9
	v_mul_f32_dpp v119, v249, v119 quad_perm:[3,3,3,3] row_mask:0xf bank_mask:0xf// 00000000CE40: 0AEEEEFA FF00FFF9
	v_mul_f32_dpp v120, v250, v120 quad_perm:[0,0,0,0] row_mask:0xf bank_mask:0xf// 00000000CE48: 0AF0F0FA FF0000FA
	v_mul_f32_dpp v121, v250, v121 quad_perm:[1,1,1,1] row_mask:0xf bank_mask:0xf// 00000000CE50: 0AF2F2FA FF0055FA
	v_mul_f32_dpp v122, v250, v122 quad_perm:[2,2,2,2] row_mask:0xf bank_mask:0xf// 00000000CE58: 0AF4F4FA FF00AAFA
	v_mul_f32_dpp v123, v250, v123 quad_perm:[3,3,3,3] row_mask:0xf bank_mask:0xf// 00000000CE60: 0AF6F6FA FF00FFFA
	v_mul_f32_dpp v124, v251, v124 quad_perm:[0,0,0,0] row_mask:0xf bank_mask:0xf// 00000000CE68: 0AF8F8FA FF0000FB
	v_mul_f32_dpp v125, v251, v125 quad_perm:[1,1,1,1] row_mask:0xf bank_mask:0xf// 00000000CE70: 0AFAFAFA FF0055FB
	v_mul_f32_dpp v126, v251, v126 quad_perm:[2,2,2,2] row_mask:0xf bank_mask:0xf// 00000000CE78: 0AFCFCFA FF00AAFB
	v_mul_f32_dpp v127, v251, v127 quad_perm:[3,3,3,3] row_mask:0xf bank_mask:0xf// 00000000CE80: 0AFEFEFA FF00FFFB
	s_cmp_le_i32 s90, s89                                      // 00000000CE88: BF05595A
	s_cbranch_scc1 label_2B95                                  // 00000000CE8C: BF850071
	v_mov_b32_e32 v66, 0xff800000                              // 00000000CE90: 7E8402FF FF800000
	s_mov_b32 s60, s90                                         // 00000000CE98: BEBC005A
	s_add_u32 s61, s89, 0xff                                   // 00000000CE9C: 803DFF59 000000FF
	v_mov_b32_e32 v64, s61                                     // 00000000CEA4: 7E80023D
	v_lshrrev_b32_e32 v240, 4, v0                              // 00000000CEA8: 21E00084
	v_mul_i32_i24_e32 v240, 4, v240                            // 00000000CEAC: 0DE1E084
	v_add_u32_e32 v240, s60, v240                              // 00000000CEB0: 69E1E03C
	s_mov_b32 s61, 0                                           // 00000000CEB4: BEBD0080
	s_mul_i32 s60, 16, s7                                      // 00000000CEB8: 923C0790
	v_sub_u32_e64 v240, v240, s61                              // 00000000CEBC: D13500F0 00007BF0
	v_add_u32_e32 v240, s60, v240                              // 00000000CEC4: 69E1E03C
	v_add_u32_e32 v241, 1, v240                                // 00000000CEC8: 69E3E081
	v_add_u32_e32 v242, 2, v240                                // 00000000CECC: 69E5E082
	v_add_u32_e32 v243, 3, v240                                // 00000000CED0: 69E7E083
	v_cmp_le_u32_e64 s[40:41], v240, v64                       // 00000000CED4: D0CB0028 000281F0
	v_add_u32_e32 v240, 64, v240                               // 00000000CEDC: 69E1E0C0
	s_nop 0                                                    // 00000000CEE0: BF800000
	v_cndmask_b32_e64 v112, v66, v112, s[40:41]                // 00000000CEE4: D1000070 00A2E142
	v_cmp_le_u32_e64 s[40:41], v241, v64                       // 00000000CEEC: D0CB0028 000281F1
	v_add_u32_e32 v241, 64, v241                               // 00000000CEF4: 69E3E2C0
	s_nop 0                                                    // 00000000CEF8: BF800000
	v_cndmask_b32_e64 v113, v66, v113, s[40:41]                // 00000000CEFC: D1000071 00A2E342
	v_cmp_le_u32_e64 s[40:41], v242, v64                       // 00000000CF04: D0CB0028 000281F2
	v_add_u32_e32 v242, 64, v242                               // 00000000CF0C: 69E5E4C0
	s_nop 0                                                    // 00000000CF10: BF800000
	v_cndmask_b32_e64 v114, v66, v114, s[40:41]                // 00000000CF14: D1000072 00A2E542
	v_cmp_le_u32_e64 s[40:41], v243, v64                       // 00000000CF1C: D0CB0028 000281F3
	v_add_u32_e32 v243, 64, v243                               // 00000000CF24: 69E7E6C0
	s_nop 0                                                    // 00000000CF28: BF800000
	v_cndmask_b32_e64 v115, v66, v115, s[40:41]                // 00000000CF2C: D1000073 00A2E742
	v_cmp_le_u32_e64 s[40:41], v240, v64                       // 00000000CF34: D0CB0028 000281F0
	v_add_u32_e32 v240, 64, v240                               // 00000000CF3C: 69E1E0C0
	s_nop 0                                                    // 00000000CF40: BF800000
	v_cndmask_b32_e64 v116, v66, v116, s[40:41]                // 00000000CF44: D1000074 00A2E942
	v_cmp_le_u32_e64 s[40:41], v241, v64                       // 00000000CF4C: D0CB0028 000281F1
	v_add_u32_e32 v241, 64, v241                               // 00000000CF54: 69E3E2C0
	s_nop 0                                                    // 00000000CF58: BF800000
	v_cndmask_b32_e64 v117, v66, v117, s[40:41]                // 00000000CF5C: D1000075 00A2EB42
	v_cmp_le_u32_e64 s[40:41], v242, v64                       // 00000000CF64: D0CB0028 000281F2
	v_add_u32_e32 v242, 64, v242                               // 00000000CF6C: 69E5E4C0
	s_nop 0                                                    // 00000000CF70: BF800000
	v_cndmask_b32_e64 v118, v66, v118, s[40:41]                // 00000000CF74: D1000076 00A2ED42
	v_cmp_le_u32_e64 s[40:41], v243, v64                       // 00000000CF7C: D0CB0028 000281F3
	v_add_u32_e32 v243, 64, v243                               // 00000000CF84: 69E7E6C0
	s_nop 0                                                    // 00000000CF88: BF800000
	v_cndmask_b32_e64 v119, v66, v119, s[40:41]                // 00000000CF8C: D1000077 00A2EF42
	v_cmp_le_u32_e64 s[40:41], v240, v64                       // 00000000CF94: D0CB0028 000281F0
	v_add_u32_e32 v240, 64, v240                               // 00000000CF9C: 69E1E0C0
	s_nop 0                                                    // 00000000CFA0: BF800000
	v_cndmask_b32_e64 v120, v66, v120, s[40:41]                // 00000000CFA4: D1000078 00A2F142
	v_cmp_le_u32_e64 s[40:41], v241, v64                       // 00000000CFAC: D0CB0028 000281F1
	v_add_u32_e32 v241, 64, v241                               // 00000000CFB4: 69E3E2C0
	s_nop 0                                                    // 00000000CFB8: BF800000
	v_cndmask_b32_e64 v121, v66, v121, s[40:41]                // 00000000CFBC: D1000079 00A2F342
	v_cmp_le_u32_e64 s[40:41], v242, v64                       // 00000000CFC4: D0CB0028 000281F2
	v_add_u32_e32 v242, 64, v242                               // 00000000CFCC: 69E5E4C0
	s_nop 0                                                    // 00000000CFD0: BF800000
	v_cndmask_b32_e64 v122, v66, v122, s[40:41]                // 00000000CFD4: D100007A 00A2F542
	v_cmp_le_u32_e64 s[40:41], v243, v64                       // 00000000CFDC: D0CB0028 000281F3
	v_add_u32_e32 v243, 64, v243                               // 00000000CFE4: 69E7E6C0
	s_nop 0                                                    // 00000000CFE8: BF800000
	v_cndmask_b32_e64 v123, v66, v123, s[40:41]                // 00000000CFEC: D100007B 00A2F742
	v_cmp_le_u32_e64 s[40:41], v240, v64                       // 00000000CFF4: D0CB0028 000281F0
	v_add_u32_e32 v240, 64, v240                               // 00000000CFFC: 69E1E0C0
	s_nop 0                                                    // 00000000D000: BF800000
	v_cndmask_b32_e64 v124, v66, v124, s[40:41]                // 00000000D004: D100007C 00A2F942
	v_cmp_le_u32_e64 s[40:41], v241, v64                       // 00000000D00C: D0CB0028 000281F1
	v_add_u32_e32 v241, 64, v241                               // 00000000D014: 69E3E2C0
	s_nop 0                                                    // 00000000D018: BF800000
	v_cndmask_b32_e64 v125, v66, v125, s[40:41]                // 00000000D01C: D100007D 00A2FB42
	v_cmp_le_u32_e64 s[40:41], v242, v64                       // 00000000D024: D0CB0028 000281F2
	v_add_u32_e32 v242, 64, v242                               // 00000000D02C: 69E5E4C0
	s_nop 0                                                    // 00000000D030: BF800000
	v_cndmask_b32_e64 v126, v66, v126, s[40:41]                // 00000000D034: D100007E 00A2FD42
	v_cmp_le_u32_e64 s[40:41], v243, v64                       // 00000000D03C: D0CB0028 000281F3
	v_add_u32_e32 v243, 64, v243                               // 00000000D044: 69E7E6C0
	s_nop 0                                                    // 00000000D048: BF800000
	v_cndmask_b32_e64 v127, v66, v127, s[40:41]                // 00000000D04C: D100007F 00A2FF42

000000000000d054 <label_2B95>:
	s_and_b32 s60, s72, 0xff                                   // 00000000D054: 863CFF48 000000FF
	v_mov_b32_e32 v65, s60                                     // 00000000D05C: 7E82023C
	v_lshrrev_b32_e32 v240, 4, v0                              // 00000000D060: 21E00084
	v_mul_i32_i24_e32 v240, 4, v240                            // 00000000D064: 0DE1E084
	s_mul_i32 s60, s7, 16                                      // 00000000D068: 923C9007
	v_add_u32_e32 v240, s60, v240                              // 00000000D06C: 69E1E03C
	v_add_u32_e32 v241, 1, v240                                // 00000000D070: 69E3E081
	v_add_u32_e32 v242, 2, v240                                // 00000000D074: 69E5E082
	v_add_u32_e32 v243, 3, v240                                // 00000000D078: 69E7E083
	v_mov_b32_e32 v64, 0xff800000                              // 00000000D07C: 7E8002FF FF800000
	v_cmp_lt_u32_e64 s[40:41], v240, v65                       // 00000000D084: D0C90028 000283F0
	v_add_u32_e32 v240, 64, v240                               // 00000000D08C: 69E1E0C0
	s_nop 0                                                    // 00000000D090: BF800000
	v_cndmask_b32_e64 v112, v64, v112, s[40:41]                // 00000000D094: D1000070 00A2E140
	v_cmp_lt_u32_e64 s[40:41], v241, v65                       // 00000000D09C: D0C90028 000283F1
	v_add_u32_e32 v241, 64, v241                               // 00000000D0A4: 69E3E2C0
	s_nop 0                                                    // 00000000D0A8: BF800000
	v_cndmask_b32_e64 v113, v64, v113, s[40:41]                // 00000000D0AC: D1000071 00A2E340
	v_cmp_lt_u32_e64 s[40:41], v242, v65                       // 00000000D0B4: D0C90028 000283F2
	v_add_u32_e32 v242, 64, v242                               // 00000000D0BC: 69E5E4C0
	s_nop 0                                                    // 00000000D0C0: BF800000
	v_cndmask_b32_e64 v114, v64, v114, s[40:41]                // 00000000D0C4: D1000072 00A2E540
	v_cmp_lt_u32_e64 s[40:41], v243, v65                       // 00000000D0CC: D0C90028 000283F3
	v_add_u32_e32 v243, 64, v243                               // 00000000D0D4: 69E7E6C0
	s_nop 0                                                    // 00000000D0D8: BF800000
	v_cndmask_b32_e64 v115, v64, v115, s[40:41]                // 00000000D0DC: D1000073 00A2E740
	v_cmp_lt_u32_e64 s[40:41], v240, v65                       // 00000000D0E4: D0C90028 000283F0
	v_add_u32_e32 v240, 64, v240                               // 00000000D0EC: 69E1E0C0
	s_nop 0                                                    // 00000000D0F0: BF800000
	v_cndmask_b32_e64 v116, v64, v116, s[40:41]                // 00000000D0F4: D1000074 00A2E940
	v_cmp_lt_u32_e64 s[40:41], v241, v65                       // 00000000D0FC: D0C90028 000283F1
	v_add_u32_e32 v241, 64, v241                               // 00000000D104: 69E3E2C0
	s_nop 0                                                    // 00000000D108: BF800000
	v_cndmask_b32_e64 v117, v64, v117, s[40:41]                // 00000000D10C: D1000075 00A2EB40
	v_cmp_lt_u32_e64 s[40:41], v242, v65                       // 00000000D114: D0C90028 000283F2
	v_add_u32_e32 v242, 64, v242                               // 00000000D11C: 69E5E4C0
	s_nop 0                                                    // 00000000D120: BF800000
	v_cndmask_b32_e64 v118, v64, v118, s[40:41]                // 00000000D124: D1000076 00A2ED40
	v_cmp_lt_u32_e64 s[40:41], v243, v65                       // 00000000D12C: D0C90028 000283F3
	v_add_u32_e32 v243, 64, v243                               // 00000000D134: 69E7E6C0
	s_nop 0                                                    // 00000000D138: BF800000
	v_cndmask_b32_e64 v119, v64, v119, s[40:41]                // 00000000D13C: D1000077 00A2EF40
	v_cmp_lt_u32_e64 s[40:41], v240, v65                       // 00000000D144: D0C90028 000283F0
	v_add_u32_e32 v240, 64, v240                               // 00000000D14C: 69E1E0C0
	s_nop 0                                                    // 00000000D150: BF800000
	v_cndmask_b32_e64 v120, v64, v120, s[40:41]                // 00000000D154: D1000078 00A2F140
	v_cmp_lt_u32_e64 s[40:41], v241, v65                       // 00000000D15C: D0C90028 000283F1
	v_add_u32_e32 v241, 64, v241                               // 00000000D164: 69E3E2C0
	s_nop 0                                                    // 00000000D168: BF800000
	v_cndmask_b32_e64 v121, v64, v121, s[40:41]                // 00000000D16C: D1000079 00A2F340
	v_cmp_lt_u32_e64 s[40:41], v242, v65                       // 00000000D174: D0C90028 000283F2
	v_add_u32_e32 v242, 64, v242                               // 00000000D17C: 69E5E4C0
	s_nop 0                                                    // 00000000D180: BF800000
	v_cndmask_b32_e64 v122, v64, v122, s[40:41]                // 00000000D184: D100007A 00A2F540
	v_cmp_lt_u32_e64 s[40:41], v243, v65                       // 00000000D18C: D0C90028 000283F3
	v_add_u32_e32 v243, 64, v243                               // 00000000D194: 69E7E6C0
	s_nop 0                                                    // 00000000D198: BF800000
	v_cndmask_b32_e64 v123, v64, v123, s[40:41]                // 00000000D19C: D100007B 00A2F740
	v_cmp_lt_u32_e64 s[40:41], v240, v65                       // 00000000D1A4: D0C90028 000283F0
	v_add_u32_e32 v240, 64, v240                               // 00000000D1AC: 69E1E0C0
	s_nop 0                                                    // 00000000D1B0: BF800000
	v_cndmask_b32_e64 v124, v64, v124, s[40:41]                // 00000000D1B4: D100007C 00A2F940
	v_cmp_lt_u32_e64 s[40:41], v241, v65                       // 00000000D1BC: D0C90028 000283F1
	v_add_u32_e32 v241, 64, v241                               // 00000000D1C4: 69E3E2C0
	s_nop 0                                                    // 00000000D1C8: BF800000
	v_cndmask_b32_e64 v125, v64, v125, s[40:41]                // 00000000D1CC: D100007D 00A2FB40
	v_cmp_lt_u32_e64 s[40:41], v242, v65                       // 00000000D1D4: D0C90028 000283F2
	v_add_u32_e32 v242, 64, v242                               // 00000000D1DC: 69E5E4C0
	s_nop 0                                                    // 00000000D1E0: BF800000
	v_cndmask_b32_e64 v126, v64, v126, s[40:41]                // 00000000D1E4: D100007E 00A2FD40
	v_cmp_lt_u32_e64 s[40:41], v243, v65                       // 00000000D1EC: D0C90028 000283F3
	v_add_u32_e32 v243, 64, v243                               // 00000000D1F4: 69E7E6C0
	s_nop 0                                                    // 00000000D1F8: BF800000
	v_cndmask_b32_e64 v127, v64, v127, s[40:41]                // 00000000D1FC: D100007F 00A2FF40
	v_mov_b32_e32 v48, v112                                    // 00000000D204: 7E600370
	v_max3_f32 v48, v112, v113, v48                            // 00000000D208: D1D30030 04C2E370
	v_max3_f32 v48, v114, v115, v48                            // 00000000D210: D1D30030 04C2E772
	v_max3_f32 v48, v116, v117, v48                            // 00000000D218: D1D30030 04C2EB74
	v_max3_f32 v48, v118, v119, v48                            // 00000000D220: D1D30030 04C2EF76
	v_max3_f32 v48, v120, v121, v48                            // 00000000D228: D1D30030 04C2F378
	v_max3_f32 v48, v122, v123, v48                            // 00000000D230: D1D30030 04C2F77A
	v_max3_f32 v48, v124, v125, v48                            // 00000000D238: D1D30030 04C2FB7C
	v_max3_f32 v48, v126, v127, v48                            // 00000000D240: D1D30030 04C2FF7E
	ds_write_b32 v8, v48 offset:16896                          // 00000000D248: D81A4200 00003008
	v_mul_u32_u24_dpp v64, v17, v54 row_newbcast:1 row_mask:0xf bank_mask:0xf// 00000000D250: 10806CFA FF015111
	v_mul_u32_u24_dpp v65, v17, v54 row_newbcast:5 row_mask:0xf bank_mask:0xf// 00000000D258: 10826CFA FF015511
	v_mul_u32_u24_dpp v66, v17, v54 row_newbcast:9 row_mask:0xf bank_mask:0xf// 00000000D260: 10846CFA FF015911
	v_mul_u32_u24_dpp v67, v17, v54 row_newbcast:13 row_mask:0xf bank_mask:0xf// 00000000D268: 10866CFA FF015D11
	v_add_u32_e32 v34, v64, v6                                 // 00000000D270: 68440D40
	v_add_u32_e32 v35, v65, v6                                 // 00000000D274: 68460D41
	v_add_u32_e32 v36, v66, v6                                 // 00000000D278: 68480D42
	v_add_u32_e32 v37, v67, v6                                 // 00000000D27C: 684A0D43
	v_mul_f32_e32 v208, v49, v208                              // 00000000D280: 0BA1A131
	v_mul_f32_e32 v209, v49, v209                              // 00000000D284: 0BA3A331
	v_mul_f32_e32 v210, v49, v210                              // 00000000D288: 0BA5A531
	v_mul_f32_e32 v211, v49, v211                              // 00000000D28C: 0BA7A731
	v_mul_f32_e32 v212, v49, v212                              // 00000000D290: 0BA9A931
	v_mul_f32_e32 v213, v49, v213                              // 00000000D294: 0BABAB31
	v_mul_f32_e32 v214, v49, v214                              // 00000000D298: 0BADAD31
	v_mul_f32_e32 v215, v49, v215                              // 00000000D29C: 0BAFAF31
	s_waitcnt lgkmcnt(0)                                       // 00000000D2A0: BF8CC07F
	s_barrier                                                  // 00000000D2A4: BF8A0000
	ds_read_b32 v64, v7 offset:16896                           // 00000000D2A8: D86C4200 40000007
	ds_read_b32 v65, v7 offset:16960                           // 00000000D2B0: D86C4240 41000007
	ds_read_b32 v66, v7 offset:17024                           // 00000000D2B8: D86C4280 42000007
	ds_read_b32 v67, v7 offset:17088                           // 00000000D2C0: D86C42C0 43000007
	ds_read_b32 v68, v7 offset:17152                           // 00000000D2C8: D86C4300 44000007
	ds_read_b32 v69, v7 offset:17216                           // 00000000D2D0: D86C4340 45000007
	ds_read_b32 v70, v7 offset:17280                           // 00000000D2D8: D86C4380 46000007
	ds_read_b32 v71, v7 offset:17344                           // 00000000D2E0: D86C43C0 47000007
	ds_read_b32 v72, v7 offset:17408                           // 00000000D2E8: D86C4400 48000007
	ds_read_b32 v73, v7 offset:17472                           // 00000000D2F0: D86C4440 49000007
	ds_read_b32 v74, v7 offset:17536                           // 00000000D2F8: D86C4480 4A000007
	ds_read_b32 v75, v7 offset:17600                           // 00000000D300: D86C44C0 4B000007
	ds_read_b32 v76, v7 offset:17664                           // 00000000D308: D86C4500 4C000007
	ds_read_b32 v77, v7 offset:17728                           // 00000000D310: D86C4540 4D000007
	ds_read_b32 v78, v7 offset:17792                           // 00000000D318: D86C4580 4E000007
	ds_read_b32 v79, v7 offset:17856                           // 00000000D320: D86C45C0 4F000007
	v_mul_f32_e32 v176, v44, v176                              // 00000000D328: 0B61612C
	v_mul_f32_e32 v177, v44, v177                              // 00000000D32C: 0B63632C
	v_mul_f32_e32 v178, v44, v178                              // 00000000D330: 0B65652C
	v_mul_f32_e32 v179, v44, v179                              // 00000000D334: 0B67672C
	v_mul_f32_e32 v180, v44, v180                              // 00000000D338: 0B69692C
	v_mul_f32_e32 v181, v44, v181                              // 00000000D33C: 0B6B6B2C
	v_mul_f32_e32 v182, v44, v182                              // 00000000D340: 0B6D6D2C
	v_mul_f32_e32 v183, v44, v183                              // 00000000D344: 0B6F6F2C
	s_waitcnt lgkmcnt(0)                                       // 00000000D348: BF8CC07F
	v_max3_f32 v48, v64, v65, v48                              // 00000000D34C: D1D30030 04C28340
	v_max3_f32 v48, v66, v67, v48                              // 00000000D354: D1D30030 04C28742
	v_max3_f32 v48, v68, v69, v48                              // 00000000D35C: D1D30030 04C28B44
	v_max3_f32 v48, v70, v71, v48                              // 00000000D364: D1D30030 04C28F46
	v_max3_f32 v48, v72, v73, v48                              // 00000000D36C: D1D30030 04C29348
	v_max3_f32 v48, v74, v75, v48                              // 00000000D374: D1D30030 04C2974A
	v_max3_f32 v48, v76, v77, v48                              // 00000000D37C: D1D30030 04C29B4C
	v_max3_f32 v48, v78, v79, v48                              // 00000000D384: D1D30030 04C29F4E
	v_mov_b32_e32 v64, 0xff800000                              // 00000000D38C: 7E8002FF FF800000
	v_cmp_eq_u32_e64 s[40:41], v64, v11                        // 00000000D394: D0CA0028 00021740
	s_nop 1                                                    // 00000000D39C: BF800001
	v_max_f32_e32 v15, v48, v11                                // 00000000D3A0: 161E1730
	v_mul_f32_e32 v53, s64, v15                                // 00000000D3A4: 0A6A1E40
	v_fma_f32 v112, v112, s64, -v53                            // 00000000D3A8: D1CB0070 84D48170
	v_fma_f32 v113, v113, s64, -v53                            // 00000000D3B0: D1CB0071 84D48171
	v_fma_f32 v114, v114, s64, -v53                            // 00000000D3B8: D1CB0072 84D48172
	v_fma_f32 v115, v115, s64, -v53                            // 00000000D3C0: D1CB0073 84D48173
	v_fma_f32 v116, v116, s64, -v53                            // 00000000D3C8: D1CB0074 84D48174
	v_fma_f32 v117, v117, s64, -v53                            // 00000000D3D0: D1CB0075 84D48175
	v_fma_f32 v118, v118, s64, -v53                            // 00000000D3D8: D1CB0076 84D48176
	v_fma_f32 v119, v119, s64, -v53                            // 00000000D3E0: D1CB0077 84D48177
	v_fma_f32 v120, v120, s64, -v53                            // 00000000D3E8: D1CB0078 84D48178
	v_fma_f32 v121, v121, s64, -v53                            // 00000000D3F0: D1CB0079 84D48179
	v_fma_f32 v122, v122, s64, -v53                            // 00000000D3F8: D1CB007A 84D4817A
	v_fma_f32 v123, v123, s64, -v53                            // 00000000D400: D1CB007B 84D4817B
	v_fma_f32 v124, v124, s64, -v53                            // 00000000D408: D1CB007C 84D4817C
	v_fma_f32 v125, v125, s64, -v53                            // 00000000D410: D1CB007D 84D4817D
	v_fma_f32 v126, v126, s64, -v53                            // 00000000D418: D1CB007E 84D4817E
	v_fma_f32 v127, v127, s64, -v53                            // 00000000D420: D1CB007F 84D4817F
	v_exp_f32_e32 v112, v112                                   // 00000000D428: 7EE04170
	v_exp_f32_e32 v113, v113                                   // 00000000D42C: 7EE24171
	v_exp_f32_e32 v114, v114                                   // 00000000D430: 7EE44172
	v_exp_f32_e32 v115, v115                                   // 00000000D434: 7EE64173
	v_exp_f32_e32 v116, v116                                   // 00000000D438: 7EE84174
	v_exp_f32_e32 v117, v117                                   // 00000000D43C: 7EEA4175
	v_exp_f32_e32 v118, v118                                   // 00000000D440: 7EEC4176
	v_exp_f32_e32 v119, v119                                   // 00000000D444: 7EEE4177
	v_exp_f32_e32 v120, v120                                   // 00000000D448: 7EF04178
	v_exp_f32_e32 v121, v121                                   // 00000000D44C: 7EF24179
	v_exp_f32_e32 v122, v122                                   // 00000000D450: 7EF4417A
	v_exp_f32_e32 v123, v123                                   // 00000000D454: 7EF6417B
	v_exp_f32_e32 v124, v124                                   // 00000000D458: 7EF8417C
	v_exp_f32_e32 v125, v125                                   // 00000000D45C: 7EFA417D
	v_exp_f32_e32 v126, v126                                   // 00000000D460: 7EFC417E
	v_exp_f32_e32 v127, v127                                   // 00000000D464: 7EFE417F
	v_mul_f32_dpp v240, v252, v112 quad_perm:[0,0,0,0] row_mask:0xf bank_mask:0xf// 00000000D468: 0BE0E0FA FF0000FC
	v_mul_f32_dpp v241, v252, v113 quad_perm:[1,1,1,1] row_mask:0xf bank_mask:0xf// 00000000D470: 0BE2E2FA FF0055FC
	v_mul_f32_dpp v242, v252, v114 quad_perm:[2,2,2,2] row_mask:0xf bank_mask:0xf// 00000000D478: 0BE4E4FA FF00AAFC
	v_mul_f32_dpp v243, v252, v115 quad_perm:[3,3,3,3] row_mask:0xf bank_mask:0xf// 00000000D480: 0BE6E6FA FF00FFFC
	v_mul_f32_dpp v244, v253, v116 quad_perm:[0,0,0,0] row_mask:0xf bank_mask:0xf// 00000000D488: 0BE8E8FA FF0000FD
	v_mul_f32_dpp v245, v253, v117 quad_perm:[1,1,1,1] row_mask:0xf bank_mask:0xf// 00000000D490: 0BEAEAFA FF0055FD
	v_mul_f32_dpp v246, v253, v118 quad_perm:[2,2,2,2] row_mask:0xf bank_mask:0xf// 00000000D498: 0BECECFA FF00AAFD
	v_mul_f32_dpp v247, v253, v119 quad_perm:[3,3,3,3] row_mask:0xf bank_mask:0xf// 00000000D4A0: 0BEEEEFA FF00FFFD
	v_mul_f32_dpp v248, v254, v120 quad_perm:[0,0,0,0] row_mask:0xf bank_mask:0xf// 00000000D4A8: 0BF0F0FA FF0000FE
	v_mul_f32_dpp v249, v254, v121 quad_perm:[1,1,1,1] row_mask:0xf bank_mask:0xf// 00000000D4B0: 0BF2F2FA FF0055FE
	v_mul_f32_dpp v250, v254, v122 quad_perm:[2,2,2,2] row_mask:0xf bank_mask:0xf// 00000000D4B8: 0BF4F4FA FF00AAFE
	v_mul_f32_dpp v251, v254, v123 quad_perm:[3,3,3,3] row_mask:0xf bank_mask:0xf// 00000000D4C0: 0BF6F6FA FF00FFFE
	v_mul_f32_dpp v252, v255, v124 quad_perm:[0,0,0,0] row_mask:0xf bank_mask:0xf// 00000000D4C8: 0BF8F8FA FF0000FF
	v_mul_f32_dpp v253, v255, v125 quad_perm:[1,1,1,1] row_mask:0xf bank_mask:0xf// 00000000D4D0: 0BFAFAFA FF0055FF
	v_mul_f32_dpp v254, v255, v126 quad_perm:[2,2,2,2] row_mask:0xf bank_mask:0xf// 00000000D4D8: 0BFCFCFA FF00AAFF
	v_mul_f32_dpp v255, v255, v127 quad_perm:[3,3,3,3] row_mask:0xf bank_mask:0xf// 00000000D4E0: 0BFEFEFA FF00FFFF
	v_mov_b32_e32 v48, 0x358637bd                              // 00000000D4E8: 7E6002FF 358637BD
	v_max3_f32 v48, |v240|, |v241|, v48                        // 00000000D4F0: D1D30330 04C3E3F0
	v_max3_f32 v48, |v242|, |v243|, v48                        // 00000000D4F8: D1D30330 04C3E7F2
	v_max3_f32 v48, |v244|, |v245|, v48                        // 00000000D500: D1D30330 04C3EBF4
	v_max3_f32 v48, |v246|, |v247|, v48                        // 00000000D508: D1D30330 04C3EFF6
	v_max3_f32 v48, |v248|, |v249|, v48                        // 00000000D510: D1D30330 04C3F3F8
	v_max3_f32 v48, |v250|, |v251|, v48                        // 00000000D518: D1D30330 04C3F7FA
	v_max3_f32 v48, |v252|, |v253|, v48                        // 00000000D520: D1D30330 04C3FBFC
	v_max3_f32 v48, |v254|, |v255|, v48                        // 00000000D528: D1D30330 04C3FFFE
	ds_write_b32 v8, v48 offset:20992                          // 00000000D530: D81A5200 00003008
	v_sub_f32_e32 v49, v11, v15                                // 00000000D538: 04621F0B
	v_cndmask_b32_e64 v49, v49, 0, s[40:41]                    // 00000000D53C: D1000031 00A10131
	v_mov_b32_e32 v11, v15                                     // 00000000D544: 7E16030F
	v_mul_f32_e32 v49, s64, v49                                // 00000000D548: 0A626240
	v_exp_f32_e32 v49, v49                                     // 00000000D54C: 7E624131
	s_waitcnt lgkmcnt(0)                                       // 00000000D550: BF8CC07F
	s_barrier                                                  // 00000000D554: BF8A0000
	ds_read_b32 v64, v7 offset:20992                           // 00000000D558: D86C5200 40000007
	ds_read_b32 v65, v7 offset:21056                           // 00000000D560: D86C5240 41000007
	ds_read_b32 v66, v7 offset:21120                           // 00000000D568: D86C5280 42000007
	ds_read_b32 v67, v7 offset:21184                           // 00000000D570: D86C52C0 43000007
	ds_read_b32 v68, v7 offset:21248                           // 00000000D578: D86C5300 44000007
	ds_read_b32 v69, v7 offset:21312                           // 00000000D580: D86C5340 45000007
	ds_read_b32 v70, v7 offset:21376                           // 00000000D588: D86C5380 46000007
	ds_read_b32 v71, v7 offset:21440                           // 00000000D590: D86C53C0 47000007
	ds_read_b32 v72, v7 offset:21504                           // 00000000D598: D86C5400 48000007
	ds_read_b32 v73, v7 offset:21568                           // 00000000D5A0: D86C5440 49000007
	ds_read_b32 v74, v7 offset:21632                           // 00000000D5A8: D86C5480 4A000007
	ds_read_b32 v75, v7 offset:21696                           // 00000000D5B0: D86C54C0 4B000007
	ds_read_b32 v76, v7 offset:21760                           // 00000000D5B8: D86C5500 4C000007
	ds_read_b32 v77, v7 offset:21824                           // 00000000D5C0: D86C5540 4D000007
	ds_read_b32 v78, v7 offset:21888                           // 00000000D5C8: D86C5580 4E000007
	ds_read_b32 v79, v7 offset:21952                           // 00000000D5D0: D86C55C0 4F000007
	v_mul_f32_e32 v38, v49, v38                                // 00000000D5D8: 0A4C4D31
	v_mov_b32_e32 v15, v112                                    // 00000000D5DC: 7E1E0370
	v_add_f32_e32 v15, v113, v15                               // 00000000D5E0: 021E1F71
	v_add_f32_e32 v15, v114, v15                               // 00000000D5E4: 021E1F72
	v_add_f32_e32 v15, v115, v15                               // 00000000D5E8: 021E1F73
	v_add_f32_e32 v15, v116, v15                               // 00000000D5EC: 021E1F74
	v_add_f32_e32 v15, v117, v15                               // 00000000D5F0: 021E1F75
	v_add_f32_e32 v15, v118, v15                               // 00000000D5F4: 021E1F76
	v_add_f32_e32 v15, v119, v15                               // 00000000D5F8: 021E1F77
	v_add_f32_e32 v15, v120, v15                               // 00000000D5FC: 021E1F78
	v_add_f32_e32 v15, v121, v15                               // 00000000D600: 021E1F79
	v_add_f32_e32 v15, v122, v15                               // 00000000D604: 021E1F7A
	v_add_f32_e32 v15, v123, v15                               // 00000000D608: 021E1F7B
	v_add_f32_e32 v15, v124, v15                               // 00000000D60C: 021E1F7C
	v_add_f32_e32 v15, v125, v15                               // 00000000D610: 021E1F7D
	v_add_f32_e32 v15, v126, v15                               // 00000000D614: 021E1F7E
	v_add_f32_e32 v15, v127, v15                               // 00000000D618: 021E1F7F
	v_add_f32_e32 v38, v15, v38                                // 00000000D61C: 024C4D0F
	s_waitcnt lgkmcnt(0)                                       // 00000000D620: BF8CC07F
	v_max3_f32 v48, |v64|, |v65|, v48                          // 00000000D624: D1D30330 04C28340
	v_max3_f32 v48, |v66|, |v67|, v48                          // 00000000D62C: D1D30330 04C28742
	v_max3_f32 v48, |v68|, |v69|, v48                          // 00000000D634: D1D30330 04C28B44
	v_max3_f32 v48, |v70|, |v71|, v48                          // 00000000D63C: D1D30330 04C28F46
	v_max3_f32 v48, |v72|, |v73|, v48                          // 00000000D644: D1D30330 04C29348
	v_max3_f32 v48, |v74|, |v75|, v48                          // 00000000D64C: D1D30330 04C2974A
	v_max3_f32 v48, |v76|, |v77|, v48                          // 00000000D654: D1D30330 04C29B4C
	v_max3_f32 v48, |v78|, |v79|, v48                          // 00000000D65C: D1D30330 04C29F4E
	s_nop 2                                                    // 00000000D664: BF800002
	v_rcp_f32_e32 v48, v48                                     // 00000000D668: 7E604530
	s_nop 1                                                    // 00000000D66C: BF800001
	v_mul_f32_e32 v48, 0x43e00000, v48                         // 00000000D670: 0A6060FF 43E00000
	v_mul_f32_e32 v112, v48, v240                              // 00000000D678: 0AE1E130
	v_mul_f32_e32 v113, v48, v241                              // 00000000D67C: 0AE3E330
	v_mul_f32_e32 v114, v48, v242                              // 00000000D680: 0AE5E530
	v_mul_f32_e32 v115, v48, v243                              // 00000000D684: 0AE7E730
	v_mul_f32_e32 v116, v48, v244                              // 00000000D688: 0AE9E930
	v_mul_f32_e32 v117, v48, v245                              // 00000000D68C: 0AEBEB30
	v_mul_f32_e32 v118, v48, v246                              // 00000000D690: 0AEDED30
	v_mul_f32_e32 v119, v48, v247                              // 00000000D694: 0AEFEF30
	v_mul_f32_e32 v120, v48, v248                              // 00000000D698: 0AF1F130
	v_mul_f32_e32 v121, v48, v249                              // 00000000D69C: 0AF3F330
	v_mul_f32_e32 v122, v48, v250                              // 00000000D6A0: 0AF5F530
	v_mul_f32_e32 v123, v48, v251                              // 00000000D6A4: 0AF7F730
	v_mul_f32_e32 v124, v48, v252                              // 00000000D6A8: 0AF9F930
	v_mul_f32_e32 v125, v48, v253                              // 00000000D6AC: 0AFBFB30
	v_mul_f32_e32 v126, v48, v254                              // 00000000D6B0: 0AFDFD30
	v_mul_f32_e32 v127, v48, v255                              // 00000000D6B4: 0AFFFF30
	v_cvt_pk_fp8_f32 v112, v112, v113                          // 00000000D6B8: D2A20070 0002E370
	v_cvt_pk_fp8_f32 v112, v114, v115 op_sel:[0,0,1]           // 00000000D6C0: D2A24070 0002E772
	v_cvt_pk_fp8_f32 v113, v116, v117                          // 00000000D6C8: D2A20071 0002EB74
	v_cvt_pk_fp8_f32 v113, v118, v119 op_sel:[0,0,1]           // 00000000D6D0: D2A24071 0002EF76
	v_cvt_pk_fp8_f32 v114, v120, v121                          // 00000000D6D8: D2A20072 0002F378
	v_cvt_pk_fp8_f32 v114, v122, v123 op_sel:[0,0,1]           // 00000000D6E0: D2A24072 0002F77A
	v_cvt_pk_fp8_f32 v115, v124, v125                          // 00000000D6E8: D2A20073 0002FB7C
	v_cvt_pk_fp8_f32 v115, v126, v127 op_sel:[0,0,1]           // 00000000D6F0: D2A24073 0002FF7E
	ds_write_b32 v10, v112 offset:25088                        // 00000000D6F8: D81A6200 0000700A
	ds_write_b32 v10, v113 offset:26112                        // 00000000D700: D81A6600 0000710A
	ds_write_b32 v10, v114 offset:27136                        // 00000000D708: D81A6A00 0000720A
	ds_write_b32 v10, v115 offset:28160                        // 00000000D710: D81A6E00 0000730A
	v_add_f32_e32 v208, v208, v176                             // 00000000D718: 03A161D0
	v_add_f32_e32 v209, v209, v177                             // 00000000D71C: 03A363D1
	v_add_f32_e32 v210, v210, v178                             // 00000000D720: 03A565D2
	v_add_f32_e32 v211, v211, v179                             // 00000000D724: 03A767D3
	v_add_f32_e32 v212, v212, v180                             // 00000000D728: 03A969D4
	v_add_f32_e32 v213, v213, v181                             // 00000000D72C: 03AB6BD5
	v_add_f32_e32 v214, v214, v182                             // 00000000D730: 03AD6DD6
	v_add_f32_e32 v215, v215, v183                             // 00000000D734: 03AF6FD7
	v_rcp_f32_e32 v44, v48                                     // 00000000D738: 7E584530
	s_waitcnt lgkmcnt(0)                                       // 00000000D73C: BF8CC07F
	s_barrier                                                  // 00000000D740: BF8A0000
	ds_read_b64 v[112:113], v9 offset:25088                    // 00000000D744: D8EC6200 70000009
	ds_read_b64 v[114:115], v9 offset:25216                    // 00000000D74C: D8EC6280 72000009
	ds_read_b64 v[116:117], v9 offset:26112                    // 00000000D754: D8EC6600 74000009
	ds_read_b64 v[118:119], v9 offset:26240                    // 00000000D75C: D8EC6680 76000009
	ds_read_b64 v[120:121], v9 offset:27136                    // 00000000D764: D8EC6A00 78000009
	ds_read_b64 v[122:123], v9 offset:27264                    // 00000000D76C: D8EC6A80 7A000009
	ds_read_b64 v[124:125], v9 offset:28160                    // 00000000D774: D8EC6E00 7C000009
	ds_read_b64 v[126:127], v9 offset:28288                    // 00000000D77C: D8EC6E80 7E000009
	v_mov_b32_dpp v64, v42 row_shr:4 row_mask:0xf bank_mask:0xf// 00000000D784: 7E8002FA FF01142A
	v_mov_b32_dpp v65, v42 row_shl:4 row_mask:0xf bank_mask:0xf// 00000000D78C: 7E8202FA FF01042A
	v_cndmask_b32_e64 v248, v42, v64, s[44:45]                 // 00000000D794: D10000F8 00B2812A
	v_cndmask_b32_e64 v249, v65, v42, s[44:45]                 // 00000000D79C: D10000F9 00B25541
	v_mov_b32_dpp v64, v248 row_shr:8 row_mask:0xf bank_mask:0xf// 00000000D7A4: 7E8002FA FF0118F8
	v_mov_b32_dpp v65, v248 row_shl:8 row_mask:0xf bank_mask:0xf// 00000000D7AC: 7E8202FA FF0108F8
	v_mov_b32_dpp v66, v249 row_shr:8 row_mask:0xf bank_mask:0xf// 00000000D7B4: 7E8402FA FF0118F9
	v_mov_b32_dpp v67, v249 row_shl:8 row_mask:0xf bank_mask:0xf// 00000000D7BC: 7E8602FA FF0108F9
	v_mov_b32_e32 v68, v248                                    // 00000000D7C4: 7E8803F8
	v_mov_b32_e32 v69, v249                                    // 00000000D7C8: 7E8A03F9
	v_cndmask_b32_e64 v248, v68, v64, s[42:43]                 // 00000000D7CC: D10000F8 00AA8144
	v_cndmask_b32_e64 v250, v68, v65, s[78:79]                 // 00000000D7D4: D10000FA 013A8344
	v_cndmask_b32_e64 v249, v69, v66, s[42:43]                 // 00000000D7DC: D10000F9 00AA8545
	v_cndmask_b32_e64 v251, v69, v67, s[78:79]                 // 00000000D7E4: D10000FB 013A8745
	v_mov_b32_dpp v64, v57 row_shr:4 row_mask:0xf bank_mask:0xf// 00000000D7EC: 7E8002FA FF011439
	v_mov_b32_dpp v65, v57 row_shl:4 row_mask:0xf bank_mask:0xf// 00000000D7F4: 7E8202FA FF010439
	v_cndmask_b32_e64 v252, v57, v64, s[44:45]                 // 00000000D7FC: D10000FC 00B28139
	v_cndmask_b32_e64 v253, v65, v57, s[44:45]                 // 00000000D804: D10000FD 00B27341
	v_mov_b32_dpp v64, v252 row_shr:8 row_mask:0xf bank_mask:0xf// 00000000D80C: 7E8002FA FF0118FC
	v_mov_b32_dpp v65, v252 row_shl:8 row_mask:0xf bank_mask:0xf// 00000000D814: 7E8202FA FF0108FC
	v_mov_b32_dpp v66, v253 row_shr:8 row_mask:0xf bank_mask:0xf// 00000000D81C: 7E8402FA FF0118FD
	v_mov_b32_dpp v67, v253 row_shl:8 row_mask:0xf bank_mask:0xf// 00000000D824: 7E8602FA FF0108FD
	v_mov_b32_e32 v68, v252                                    // 00000000D82C: 7E8803FC
	v_mov_b32_e32 v69, v253                                    // 00000000D830: 7E8A03FD
	v_cndmask_b32_e64 v252, v68, v64, s[42:43]                 // 00000000D834: D10000FC 00AA8144
	v_cndmask_b32_e64 v254, v68, v65, s[78:79]                 // 00000000D83C: D10000FE 013A8344
	v_cndmask_b32_e64 v253, v69, v66, s[42:43]                 // 00000000D844: D10000FD 00AA8545
	v_cndmask_b32_e64 v255, v69, v67, s[78:79]                 // 00000000D84C: D10000FF 013A8745
	v_mul_f32_e32 v128, v19, v128                              // 00000000D854: 0B010113
	v_mul_f32_e32 v129, v19, v129                              // 00000000D858: 0B030313
	v_mul_f32_e32 v130, v19, v130                              // 00000000D85C: 0B050513
	v_mul_f32_e32 v131, v19, v131                              // 00000000D860: 0B070713
	v_mul_f32_e32 v132, v19, v132                              // 00000000D864: 0B090913
	v_mul_f32_e32 v133, v19, v133                              // 00000000D868: 0B0B0B13
	v_mul_f32_e32 v134, v19, v134                              // 00000000D86C: 0B0D0D13
	v_mul_f32_e32 v135, v19, v135                              // 00000000D870: 0B0F0F13
	v_mul_f32_e32 v136, v19, v136                              // 00000000D874: 0B111113
	v_mul_f32_e32 v137, v19, v137                              // 00000000D878: 0B131313
	v_mul_f32_e32 v138, v19, v138                              // 00000000D87C: 0B151513
	v_mul_f32_e32 v139, v19, v139                              // 00000000D880: 0B171713
	v_mul_f32_e32 v140, v19, v140                              // 00000000D884: 0B191913
	v_mul_f32_e32 v141, v19, v141                              // 00000000D888: 0B1B1B13
	v_mul_f32_e32 v142, v19, v142                              // 00000000D88C: 0B1D1D13
	v_mul_f32_e32 v143, v19, v143                              // 00000000D890: 0B1F1F13
	v_mul_f32_dpp v128, v248, v128 quad_perm:[0,0,0,0] row_mask:0xf bank_mask:0xf// 00000000D894: 0B0100FA FF0000F8
	v_mul_f32_dpp v129, v248, v129 quad_perm:[1,1,1,1] row_mask:0xf bank_mask:0xf// 00000000D89C: 0B0302FA FF0055F8
	v_mul_f32_dpp v130, v248, v130 quad_perm:[2,2,2,2] row_mask:0xf bank_mask:0xf// 00000000D8A4: 0B0504FA FF00AAF8
	v_mul_f32_dpp v131, v248, v131 quad_perm:[3,3,3,3] row_mask:0xf bank_mask:0xf// 00000000D8AC: 0B0706FA FF00FFF8
	v_mul_f32_dpp v132, v249, v132 quad_perm:[0,0,0,0] row_mask:0xf bank_mask:0xf// 00000000D8B4: 0B0908FA FF0000F9
	v_mul_f32_dpp v133, v249, v133 quad_perm:[1,1,1,1] row_mask:0xf bank_mask:0xf// 00000000D8BC: 0B0B0AFA FF0055F9
	v_mul_f32_dpp v134, v249, v134 quad_perm:[2,2,2,2] row_mask:0xf bank_mask:0xf// 00000000D8C4: 0B0D0CFA FF00AAF9
	v_mul_f32_dpp v135, v249, v135 quad_perm:[3,3,3,3] row_mask:0xf bank_mask:0xf// 00000000D8CC: 0B0F0EFA FF00FFF9
	v_mul_f32_dpp v136, v250, v136 quad_perm:[0,0,0,0] row_mask:0xf bank_mask:0xf// 00000000D8D4: 0B1110FA FF0000FA
	v_mul_f32_dpp v137, v250, v137 quad_perm:[1,1,1,1] row_mask:0xf bank_mask:0xf// 00000000D8DC: 0B1312FA FF0055FA
	v_mul_f32_dpp v138, v250, v138 quad_perm:[2,2,2,2] row_mask:0xf bank_mask:0xf// 00000000D8E4: 0B1514FA FF00AAFA
	v_mul_f32_dpp v139, v250, v139 quad_perm:[3,3,3,3] row_mask:0xf bank_mask:0xf// 00000000D8EC: 0B1716FA FF00FFFA
	v_mul_f32_dpp v140, v251, v140 quad_perm:[0,0,0,0] row_mask:0xf bank_mask:0xf// 00000000D8F4: 0B1918FA FF0000FB
	v_mul_f32_dpp v141, v251, v141 quad_perm:[1,1,1,1] row_mask:0xf bank_mask:0xf// 00000000D8FC: 0B1B1AFA FF0055FB
	v_mul_f32_dpp v142, v251, v142 quad_perm:[2,2,2,2] row_mask:0xf bank_mask:0xf// 00000000D904: 0B1D1CFA FF00AAFB
	v_mul_f32_dpp v143, v251, v143 quad_perm:[3,3,3,3] row_mask:0xf bank_mask:0xf// 00000000D90C: 0B1F1EFA FF00FFFB
	s_cmp_le_i32 s90, s89                                      // 00000000D914: BF05595A
	s_cbranch_scc1 label_2E38                                  // 00000000D918: BF850071
	v_mov_b32_e32 v66, 0xff800000                              // 00000000D91C: 7E8402FF FF800000
	s_mov_b32 s60, s90                                         // 00000000D924: BEBC005A
	s_add_u32 s61, s89, 0xff                                   // 00000000D928: 803DFF59 000000FF
	v_mov_b32_e32 v64, s61                                     // 00000000D930: 7E80023D
	v_lshrrev_b32_e32 v240, 4, v0                              // 00000000D934: 21E00084
	v_mul_i32_i24_e32 v240, 4, v240                            // 00000000D938: 0DE1E084
	v_add_u32_e32 v240, s60, v240                              // 00000000D93C: 69E1E03C
	s_mov_b32 s61, 1                                           // 00000000D940: BEBD0081
	s_mul_i32 s60, 16, s7                                      // 00000000D944: 923C0790
	v_sub_u32_e64 v240, v240, s61                              // 00000000D948: D13500F0 00007BF0
	v_add_u32_e32 v240, s60, v240                              // 00000000D950: 69E1E03C
	v_add_u32_e32 v241, 1, v240                                // 00000000D954: 69E3E081
	v_add_u32_e32 v242, 2, v240                                // 00000000D958: 69E5E082
	v_add_u32_e32 v243, 3, v240                                // 00000000D95C: 69E7E083
	v_cmp_le_u32_e64 s[40:41], v240, v64                       // 00000000D960: D0CB0028 000281F0
	v_add_u32_e32 v240, 64, v240                               // 00000000D968: 69E1E0C0
	s_nop 0                                                    // 00000000D96C: BF800000
	v_cndmask_b32_e64 v128, v66, v128, s[40:41]                // 00000000D970: D1000080 00A30142
	v_cmp_le_u32_e64 s[40:41], v241, v64                       // 00000000D978: D0CB0028 000281F1
	v_add_u32_e32 v241, 64, v241                               // 00000000D980: 69E3E2C0
	s_nop 0                                                    // 00000000D984: BF800000
	v_cndmask_b32_e64 v129, v66, v129, s[40:41]                // 00000000D988: D1000081 00A30342
	v_cmp_le_u32_e64 s[40:41], v242, v64                       // 00000000D990: D0CB0028 000281F2
	v_add_u32_e32 v242, 64, v242                               // 00000000D998: 69E5E4C0
	s_nop 0                                                    // 00000000D99C: BF800000
	v_cndmask_b32_e64 v130, v66, v130, s[40:41]                // 00000000D9A0: D1000082 00A30542
	v_cmp_le_u32_e64 s[40:41], v243, v64                       // 00000000D9A8: D0CB0028 000281F3
	v_add_u32_e32 v243, 64, v243                               // 00000000D9B0: 69E7E6C0
	s_nop 0                                                    // 00000000D9B4: BF800000
	v_cndmask_b32_e64 v131, v66, v131, s[40:41]                // 00000000D9B8: D1000083 00A30742
	v_cmp_le_u32_e64 s[40:41], v240, v64                       // 00000000D9C0: D0CB0028 000281F0
	v_add_u32_e32 v240, 64, v240                               // 00000000D9C8: 69E1E0C0
	s_nop 0                                                    // 00000000D9CC: BF800000
	v_cndmask_b32_e64 v132, v66, v132, s[40:41]                // 00000000D9D0: D1000084 00A30942
	v_cmp_le_u32_e64 s[40:41], v241, v64                       // 00000000D9D8: D0CB0028 000281F1
	v_add_u32_e32 v241, 64, v241                               // 00000000D9E0: 69E3E2C0
	s_nop 0                                                    // 00000000D9E4: BF800000
	v_cndmask_b32_e64 v133, v66, v133, s[40:41]                // 00000000D9E8: D1000085 00A30B42
	v_cmp_le_u32_e64 s[40:41], v242, v64                       // 00000000D9F0: D0CB0028 000281F2
	v_add_u32_e32 v242, 64, v242                               // 00000000D9F8: 69E5E4C0
	s_nop 0                                                    // 00000000D9FC: BF800000
	v_cndmask_b32_e64 v134, v66, v134, s[40:41]                // 00000000DA00: D1000086 00A30D42
	v_cmp_le_u32_e64 s[40:41], v243, v64                       // 00000000DA08: D0CB0028 000281F3
	v_add_u32_e32 v243, 64, v243                               // 00000000DA10: 69E7E6C0
	s_nop 0                                                    // 00000000DA14: BF800000
	v_cndmask_b32_e64 v135, v66, v135, s[40:41]                // 00000000DA18: D1000087 00A30F42
	v_cmp_le_u32_e64 s[40:41], v240, v64                       // 00000000DA20: D0CB0028 000281F0
	v_add_u32_e32 v240, 64, v240                               // 00000000DA28: 69E1E0C0
	s_nop 0                                                    // 00000000DA2C: BF800000
	v_cndmask_b32_e64 v136, v66, v136, s[40:41]                // 00000000DA30: D1000088 00A31142
	v_cmp_le_u32_e64 s[40:41], v241, v64                       // 00000000DA38: D0CB0028 000281F1
	v_add_u32_e32 v241, 64, v241                               // 00000000DA40: 69E3E2C0
	s_nop 0                                                    // 00000000DA44: BF800000
	v_cndmask_b32_e64 v137, v66, v137, s[40:41]                // 00000000DA48: D1000089 00A31342
	v_cmp_le_u32_e64 s[40:41], v242, v64                       // 00000000DA50: D0CB0028 000281F2
	v_add_u32_e32 v242, 64, v242                               // 00000000DA58: 69E5E4C0
	s_nop 0                                                    // 00000000DA5C: BF800000
	v_cndmask_b32_e64 v138, v66, v138, s[40:41]                // 00000000DA60: D100008A 00A31542
	v_cmp_le_u32_e64 s[40:41], v243, v64                       // 00000000DA68: D0CB0028 000281F3
	v_add_u32_e32 v243, 64, v243                               // 00000000DA70: 69E7E6C0
	s_nop 0                                                    // 00000000DA74: BF800000
	v_cndmask_b32_e64 v139, v66, v139, s[40:41]                // 00000000DA78: D100008B 00A31742
	v_cmp_le_u32_e64 s[40:41], v240, v64                       // 00000000DA80: D0CB0028 000281F0
	v_add_u32_e32 v240, 64, v240                               // 00000000DA88: 69E1E0C0
	s_nop 0                                                    // 00000000DA8C: BF800000
	v_cndmask_b32_e64 v140, v66, v140, s[40:41]                // 00000000DA90: D100008C 00A31942
	v_cmp_le_u32_e64 s[40:41], v241, v64                       // 00000000DA98: D0CB0028 000281F1
	v_add_u32_e32 v241, 64, v241                               // 00000000DAA0: 69E3E2C0
	s_nop 0                                                    // 00000000DAA4: BF800000
	v_cndmask_b32_e64 v141, v66, v141, s[40:41]                // 00000000DAA8: D100008D 00A31B42
	v_cmp_le_u32_e64 s[40:41], v242, v64                       // 00000000DAB0: D0CB0028 000281F2
	v_add_u32_e32 v242, 64, v242                               // 00000000DAB8: 69E5E4C0
	s_nop 0                                                    // 00000000DABC: BF800000
	v_cndmask_b32_e64 v142, v66, v142, s[40:41]                // 00000000DAC0: D100008E 00A31D42
	v_cmp_le_u32_e64 s[40:41], v243, v64                       // 00000000DAC8: D0CB0028 000281F3
	v_add_u32_e32 v243, 64, v243                               // 00000000DAD0: 69E7E6C0
	s_nop 0                                                    // 00000000DAD4: BF800000
	v_cndmask_b32_e64 v143, v66, v143, s[40:41]                // 00000000DAD8: D100008F 00A31F42

000000000000dae0 <label_2E38>:
	s_add_u32 s90, s91, s90                                    // 00000000DAE0: 805A5A5B
	s_and_b32 s60, s72, 0xff                                   // 00000000DAE4: 863CFF48 000000FF
	v_mov_b32_e32 v65, s60                                     // 00000000DAEC: 7E82023C
	v_lshrrev_b32_e32 v240, 4, v0                              // 00000000DAF0: 21E00084
	v_mul_i32_i24_e32 v240, 4, v240                            // 00000000DAF4: 0DE1E084
	s_mul_i32 s60, s7, 16                                      // 00000000DAF8: 923C9007
	v_add_u32_e32 v240, s60, v240                              // 00000000DAFC: 69E1E03C
	v_add_u32_e32 v241, 1, v240                                // 00000000DB00: 69E3E081
	v_add_u32_e32 v242, 2, v240                                // 00000000DB04: 69E5E082
	v_add_u32_e32 v243, 3, v240                                // 00000000DB08: 69E7E083
	v_mov_b32_e32 v64, 0xff800000                              // 00000000DB0C: 7E8002FF FF800000
	v_cmp_lt_u32_e64 s[40:41], v240, v65                       // 00000000DB14: D0C90028 000283F0
	v_add_u32_e32 v240, 64, v240                               // 00000000DB1C: 69E1E0C0
	s_nop 0                                                    // 00000000DB20: BF800000
	v_cndmask_b32_e64 v128, v64, v128, s[40:41]                // 00000000DB24: D1000080 00A30140
	v_cmp_lt_u32_e64 s[40:41], v241, v65                       // 00000000DB2C: D0C90028 000283F1
	v_add_u32_e32 v241, 64, v241                               // 00000000DB34: 69E3E2C0
	s_nop 0                                                    // 00000000DB38: BF800000
	v_cndmask_b32_e64 v129, v64, v129, s[40:41]                // 00000000DB3C: D1000081 00A30340
	v_cmp_lt_u32_e64 s[40:41], v242, v65                       // 00000000DB44: D0C90028 000283F2
	v_add_u32_e32 v242, 64, v242                               // 00000000DB4C: 69E5E4C0
	s_nop 0                                                    // 00000000DB50: BF800000
	v_cndmask_b32_e64 v130, v64, v130, s[40:41]                // 00000000DB54: D1000082 00A30540
	v_cmp_lt_u32_e64 s[40:41], v243, v65                       // 00000000DB5C: D0C90028 000283F3
	v_add_u32_e32 v243, 64, v243                               // 00000000DB64: 69E7E6C0
	s_nop 0                                                    // 00000000DB68: BF800000
	v_cndmask_b32_e64 v131, v64, v131, s[40:41]                // 00000000DB6C: D1000083 00A30740
	v_cmp_lt_u32_e64 s[40:41], v240, v65                       // 00000000DB74: D0C90028 000283F0
	v_add_u32_e32 v240, 64, v240                               // 00000000DB7C: 69E1E0C0
	s_nop 0                                                    // 00000000DB80: BF800000
	v_cndmask_b32_e64 v132, v64, v132, s[40:41]                // 00000000DB84: D1000084 00A30940
	v_cmp_lt_u32_e64 s[40:41], v241, v65                       // 00000000DB8C: D0C90028 000283F1
	v_add_u32_e32 v241, 64, v241                               // 00000000DB94: 69E3E2C0
	s_nop 0                                                    // 00000000DB98: BF800000
	v_cndmask_b32_e64 v133, v64, v133, s[40:41]                // 00000000DB9C: D1000085 00A30B40
	v_cmp_lt_u32_e64 s[40:41], v242, v65                       // 00000000DBA4: D0C90028 000283F2
	v_add_u32_e32 v242, 64, v242                               // 00000000DBAC: 69E5E4C0
	s_nop 0                                                    // 00000000DBB0: BF800000
	v_cndmask_b32_e64 v134, v64, v134, s[40:41]                // 00000000DBB4: D1000086 00A30D40
	v_cmp_lt_u32_e64 s[40:41], v243, v65                       // 00000000DBBC: D0C90028 000283F3
	v_add_u32_e32 v243, 64, v243                               // 00000000DBC4: 69E7E6C0
	s_nop 0                                                    // 00000000DBC8: BF800000
	v_cndmask_b32_e64 v135, v64, v135, s[40:41]                // 00000000DBCC: D1000087 00A30F40
	v_cmp_lt_u32_e64 s[40:41], v240, v65                       // 00000000DBD4: D0C90028 000283F0
	v_add_u32_e32 v240, 64, v240                               // 00000000DBDC: 69E1E0C0
	s_nop 0                                                    // 00000000DBE0: BF800000
	v_cndmask_b32_e64 v136, v64, v136, s[40:41]                // 00000000DBE4: D1000088 00A31140
	v_cmp_lt_u32_e64 s[40:41], v241, v65                       // 00000000DBEC: D0C90028 000283F1
	v_add_u32_e32 v241, 64, v241                               // 00000000DBF4: 69E3E2C0
	s_nop 0                                                    // 00000000DBF8: BF800000
	v_cndmask_b32_e64 v137, v64, v137, s[40:41]                // 00000000DBFC: D1000089 00A31340
	v_cmp_lt_u32_e64 s[40:41], v242, v65                       // 00000000DC04: D0C90028 000283F2
	v_add_u32_e32 v242, 64, v242                               // 00000000DC0C: 69E5E4C0
	s_nop 0                                                    // 00000000DC10: BF800000
	v_cndmask_b32_e64 v138, v64, v138, s[40:41]                // 00000000DC14: D100008A 00A31540
	v_cmp_lt_u32_e64 s[40:41], v243, v65                       // 00000000DC1C: D0C90028 000283F3
	v_add_u32_e32 v243, 64, v243                               // 00000000DC24: 69E7E6C0
	s_nop 0                                                    // 00000000DC28: BF800000
	v_cndmask_b32_e64 v139, v64, v139, s[40:41]                // 00000000DC2C: D100008B 00A31740
	v_cmp_lt_u32_e64 s[40:41], v240, v65                       // 00000000DC34: D0C90028 000283F0
	v_add_u32_e32 v240, 64, v240                               // 00000000DC3C: 69E1E0C0
	s_nop 0                                                    // 00000000DC40: BF800000
	v_cndmask_b32_e64 v140, v64, v140, s[40:41]                // 00000000DC44: D100008C 00A31940
	v_cmp_lt_u32_e64 s[40:41], v241, v65                       // 00000000DC4C: D0C90028 000283F1
	v_add_u32_e32 v241, 64, v241                               // 00000000DC54: 69E3E2C0
	s_nop 0                                                    // 00000000DC58: BF800000
	v_cndmask_b32_e64 v141, v64, v141, s[40:41]                // 00000000DC5C: D100008D 00A31B40
	v_cmp_lt_u32_e64 s[40:41], v242, v65                       // 00000000DC64: D0C90028 000283F2
	v_add_u32_e32 v242, 64, v242                               // 00000000DC6C: 69E5E4C0
	s_nop 0                                                    // 00000000DC70: BF800000
	v_cndmask_b32_e64 v142, v64, v142, s[40:41]                // 00000000DC74: D100008E 00A31D40
	v_cmp_lt_u32_e64 s[40:41], v243, v65                       // 00000000DC7C: D0C90028 000283F3
	v_add_u32_e32 v243, 64, v243                               // 00000000DC84: 69E7E6C0
	s_nop 0                                                    // 00000000DC88: BF800000
	v_cndmask_b32_e64 v143, v64, v143, s[40:41]                // 00000000DC8C: D100008F 00A31F40
	v_mov_b32_e32 v48, v128                                    // 00000000DC94: 7E600380
	v_max3_f32 v48, v128, v129, v48                            // 00000000DC98: D1D30030 04C30380
	v_max3_f32 v48, v130, v131, v48                            // 00000000DCA0: D1D30030 04C30782
	v_max3_f32 v48, v132, v133, v48                            // 00000000DCA8: D1D30030 04C30B84
	v_max3_f32 v48, v134, v135, v48                            // 00000000DCB0: D1D30030 04C30F86
	v_max3_f32 v48, v136, v137, v48                            // 00000000DCB8: D1D30030 04C31388
	v_max3_f32 v48, v138, v139, v48                            // 00000000DCC0: D1D30030 04C3178A
	v_max3_f32 v48, v140, v141, v48                            // 00000000DCC8: D1D30030 04C31B8C
	v_max3_f32 v48, v142, v143, v48                            // 00000000DCD0: D1D30030 04C31F8E
	ds_write_b32 v8, v48 offset:16896                          // 00000000DCD8: D81A4200 00003008
	v_mul_f32_e32 v216, v50, v216                              // 00000000DCE0: 0BB1B132
	v_mul_f32_e32 v217, v50, v217                              // 00000000DCE4: 0BB3B332
	v_mul_f32_e32 v218, v50, v218                              // 00000000DCE8: 0BB5B532
	v_mul_f32_e32 v219, v50, v219                              // 00000000DCEC: 0BB7B732
	v_mul_f32_e32 v220, v50, v220                              // 00000000DCF0: 0BB9B932
	v_mul_f32_e32 v221, v50, v221                              // 00000000DCF4: 0BBBBB32
	v_mul_f32_e32 v222, v50, v222                              // 00000000DCF8: 0BBDBD32
	v_mul_f32_e32 v223, v50, v223                              // 00000000DCFC: 0BBFBF32
	s_waitcnt lgkmcnt(0)                                       // 00000000DD00: BF8CC07F
	s_barrier                                                  // 00000000DD04: BF8A0000
	ds_read_b32 v64, v7 offset:16896                           // 00000000DD08: D86C4200 40000007
	ds_read_b32 v65, v7 offset:16960                           // 00000000DD10: D86C4240 41000007
	ds_read_b32 v66, v7 offset:17024                           // 00000000DD18: D86C4280 42000007
	ds_read_b32 v67, v7 offset:17088                           // 00000000DD20: D86C42C0 43000007
	ds_read_b32 v68, v7 offset:17152                           // 00000000DD28: D86C4300 44000007
	ds_read_b32 v69, v7 offset:17216                           // 00000000DD30: D86C4340 45000007
	ds_read_b32 v70, v7 offset:17280                           // 00000000DD38: D86C4380 46000007
	ds_read_b32 v71, v7 offset:17344                           // 00000000DD40: D86C43C0 47000007
	ds_read_b32 v72, v7 offset:17408                           // 00000000DD48: D86C4400 48000007
	ds_read_b32 v73, v7 offset:17472                           // 00000000DD50: D86C4440 49000007
	ds_read_b32 v74, v7 offset:17536                           // 00000000DD58: D86C4480 4A000007
	ds_read_b32 v75, v7 offset:17600                           // 00000000DD60: D86C44C0 4B000007
	ds_read_b32 v76, v7 offset:17664                           // 00000000DD68: D86C4500 4C000007
	ds_read_b32 v77, v7 offset:17728                           // 00000000DD70: D86C4540 4D000007
	ds_read_b32 v78, v7 offset:17792                           // 00000000DD78: D86C4580 4E000007
	ds_read_b32 v79, v7 offset:17856                           // 00000000DD80: D86C45C0 4F000007
	v_mul_f32_e32 v184, v45, v184                              // 00000000DD88: 0B71712D
	v_mul_f32_e32 v185, v45, v185                              // 00000000DD8C: 0B73732D
	v_mul_f32_e32 v186, v45, v186                              // 00000000DD90: 0B75752D
	v_mul_f32_e32 v187, v45, v187                              // 00000000DD94: 0B77772D
	v_mul_f32_e32 v188, v45, v188                              // 00000000DD98: 0B79792D
	v_mul_f32_e32 v189, v45, v189                              // 00000000DD9C: 0B7B7B2D
	v_mul_f32_e32 v190, v45, v190                              // 00000000DDA0: 0B7D7D2D
	v_mul_f32_e32 v191, v45, v191                              // 00000000DDA4: 0B7F7F2D
	s_waitcnt lgkmcnt(0)                                       // 00000000DDA8: BF8CC07F
	v_max3_f32 v48, v64, v65, v48                              // 00000000DDAC: D1D30030 04C28340
	v_max3_f32 v48, v66, v67, v48                              // 00000000DDB4: D1D30030 04C28742
	v_max3_f32 v48, v68, v69, v48                              // 00000000DDBC: D1D30030 04C28B44
	v_max3_f32 v48, v70, v71, v48                              // 00000000DDC4: D1D30030 04C28F46
	v_max3_f32 v48, v72, v73, v48                              // 00000000DDCC: D1D30030 04C29348
	v_max3_f32 v48, v74, v75, v48                              // 00000000DDD4: D1D30030 04C2974A
	v_max3_f32 v48, v76, v77, v48                              // 00000000DDDC: D1D30030 04C29B4C
	v_max3_f32 v48, v78, v79, v48                              // 00000000DDE4: D1D30030 04C29F4E
	v_mov_b32_e32 v64, 0xff800000                              // 00000000DDEC: 7E8002FF FF800000
	v_cmp_eq_u32_e64 s[40:41], v64, v12                        // 00000000DDF4: D0CA0028 00021940
	s_nop 1                                                    // 00000000DDFC: BF800001
	v_max_f32_e32 v15, v48, v12                                // 00000000DE00: 161E1930
	v_mul_f32_e32 v53, s64, v15                                // 00000000DE04: 0A6A1E40
	v_fma_f32 v128, v128, s64, -v53                            // 00000000DE08: D1CB0080 84D48180
	v_fma_f32 v129, v129, s64, -v53                            // 00000000DE10: D1CB0081 84D48181
	v_fma_f32 v130, v130, s64, -v53                            // 00000000DE18: D1CB0082 84D48182
	v_fma_f32 v131, v131, s64, -v53                            // 00000000DE20: D1CB0083 84D48183
	v_fma_f32 v132, v132, s64, -v53                            // 00000000DE28: D1CB0084 84D48184
	v_fma_f32 v133, v133, s64, -v53                            // 00000000DE30: D1CB0085 84D48185
	v_fma_f32 v134, v134, s64, -v53                            // 00000000DE38: D1CB0086 84D48186
	v_fma_f32 v135, v135, s64, -v53                            // 00000000DE40: D1CB0087 84D48187
	v_fma_f32 v136, v136, s64, -v53                            // 00000000DE48: D1CB0088 84D48188
	v_fma_f32 v137, v137, s64, -v53                            // 00000000DE50: D1CB0089 84D48189
	v_fma_f32 v138, v138, s64, -v53                            // 00000000DE58: D1CB008A 84D4818A
	v_fma_f32 v139, v139, s64, -v53                            // 00000000DE60: D1CB008B 84D4818B
	v_fma_f32 v140, v140, s64, -v53                            // 00000000DE68: D1CB008C 84D4818C
	v_fma_f32 v141, v141, s64, -v53                            // 00000000DE70: D1CB008D 84D4818D
	v_fma_f32 v142, v142, s64, -v53                            // 00000000DE78: D1CB008E 84D4818E
	v_fma_f32 v143, v143, s64, -v53                            // 00000000DE80: D1CB008F 84D4818F
	v_exp_f32_e32 v128, v128                                   // 00000000DE88: 7F004180
	v_exp_f32_e32 v129, v129                                   // 00000000DE8C: 7F024181
	v_exp_f32_e32 v130, v130                                   // 00000000DE90: 7F044182
	v_exp_f32_e32 v131, v131                                   // 00000000DE94: 7F064183
	v_exp_f32_e32 v132, v132                                   // 00000000DE98: 7F084184
	v_exp_f32_e32 v133, v133                                   // 00000000DE9C: 7F0A4185
	v_exp_f32_e32 v134, v134                                   // 00000000DEA0: 7F0C4186
	v_exp_f32_e32 v135, v135                                   // 00000000DEA4: 7F0E4187
	v_exp_f32_e32 v136, v136                                   // 00000000DEA8: 7F104188
	v_exp_f32_e32 v137, v137                                   // 00000000DEAC: 7F124189
	v_exp_f32_e32 v138, v138                                   // 00000000DEB0: 7F14418A
	v_exp_f32_e32 v139, v139                                   // 00000000DEB4: 7F16418B
	v_exp_f32_e32 v140, v140                                   // 00000000DEB8: 7F18418C
	v_exp_f32_e32 v141, v141                                   // 00000000DEBC: 7F1A418D
	v_exp_f32_e32 v142, v142                                   // 00000000DEC0: 7F1C418E
	v_exp_f32_e32 v143, v143                                   // 00000000DEC4: 7F1E418F
	v_mul_f32_dpp v240, v252, v128 quad_perm:[0,0,0,0] row_mask:0xf bank_mask:0xf// 00000000DEC8: 0BE100FA FF0000FC
	v_mul_f32_dpp v241, v252, v129 quad_perm:[1,1,1,1] row_mask:0xf bank_mask:0xf// 00000000DED0: 0BE302FA FF0055FC
	v_mul_f32_dpp v242, v252, v130 quad_perm:[2,2,2,2] row_mask:0xf bank_mask:0xf// 00000000DED8: 0BE504FA FF00AAFC
	v_mul_f32_dpp v243, v252, v131 quad_perm:[3,3,3,3] row_mask:0xf bank_mask:0xf// 00000000DEE0: 0BE706FA FF00FFFC
	v_mul_f32_dpp v244, v253, v132 quad_perm:[0,0,0,0] row_mask:0xf bank_mask:0xf// 00000000DEE8: 0BE908FA FF0000FD
	v_mul_f32_dpp v245, v253, v133 quad_perm:[1,1,1,1] row_mask:0xf bank_mask:0xf// 00000000DEF0: 0BEB0AFA FF0055FD
	v_mul_f32_dpp v246, v253, v134 quad_perm:[2,2,2,2] row_mask:0xf bank_mask:0xf// 00000000DEF8: 0BED0CFA FF00AAFD
	v_mul_f32_dpp v247, v253, v135 quad_perm:[3,3,3,3] row_mask:0xf bank_mask:0xf// 00000000DF00: 0BEF0EFA FF00FFFD
	v_mul_f32_dpp v248, v254, v136 quad_perm:[0,0,0,0] row_mask:0xf bank_mask:0xf// 00000000DF08: 0BF110FA FF0000FE
	v_mul_f32_dpp v249, v254, v137 quad_perm:[1,1,1,1] row_mask:0xf bank_mask:0xf// 00000000DF10: 0BF312FA FF0055FE
	v_mul_f32_dpp v250, v254, v138 quad_perm:[2,2,2,2] row_mask:0xf bank_mask:0xf// 00000000DF18: 0BF514FA FF00AAFE
	v_mul_f32_dpp v251, v254, v139 quad_perm:[3,3,3,3] row_mask:0xf bank_mask:0xf// 00000000DF20: 0BF716FA FF00FFFE
	v_mul_f32_dpp v252, v255, v140 quad_perm:[0,0,0,0] row_mask:0xf bank_mask:0xf// 00000000DF28: 0BF918FA FF0000FF
	v_mul_f32_dpp v253, v255, v141 quad_perm:[1,1,1,1] row_mask:0xf bank_mask:0xf// 00000000DF30: 0BFB1AFA FF0055FF
	v_mul_f32_dpp v254, v255, v142 quad_perm:[2,2,2,2] row_mask:0xf bank_mask:0xf// 00000000DF38: 0BFD1CFA FF00AAFF
	v_mul_f32_dpp v255, v255, v143 quad_perm:[3,3,3,3] row_mask:0xf bank_mask:0xf// 00000000DF40: 0BFF1EFA FF00FFFF
	v_mov_b32_e32 v48, 0x358637bd                              // 00000000DF48: 7E6002FF 358637BD
	v_max3_f32 v48, |v240|, |v241|, v48                        // 00000000DF50: D1D30330 04C3E3F0
	v_max3_f32 v48, |v242|, |v243|, v48                        // 00000000DF58: D1D30330 04C3E7F2
	v_max3_f32 v48, |v244|, |v245|, v48                        // 00000000DF60: D1D30330 04C3EBF4
	v_max3_f32 v48, |v246|, |v247|, v48                        // 00000000DF68: D1D30330 04C3EFF6
	v_max3_f32 v48, |v248|, |v249|, v48                        // 00000000DF70: D1D30330 04C3F3F8
	v_max3_f32 v48, |v250|, |v251|, v48                        // 00000000DF78: D1D30330 04C3F7FA
	v_max3_f32 v48, |v252|, |v253|, v48                        // 00000000DF80: D1D30330 04C3FBFC
	v_max3_f32 v48, |v254|, |v255|, v48                        // 00000000DF88: D1D30330 04C3FFFE
	ds_write_b32 v8, v48 offset:20992                          // 00000000DF90: D81A5200 00003008
	v_sub_f32_e32 v50, v12, v15                                // 00000000DF98: 04641F0C
	v_cndmask_b32_e64 v50, v50, 0, s[40:41]                    // 00000000DF9C: D1000032 00A10132
	v_mov_b32_e32 v12, v15                                     // 00000000DFA4: 7E18030F
	v_mul_f32_e32 v50, s64, v50                                // 00000000DFA8: 0A646440
	v_exp_f32_e32 v50, v50                                     // 00000000DFAC: 7E644132
	s_waitcnt lgkmcnt(0)                                       // 00000000DFB0: BF8CC07F
	s_barrier                                                  // 00000000DFB4: BF8A0000
	ds_read_b32 v64, v7 offset:20992                           // 00000000DFB8: D86C5200 40000007
	ds_read_b32 v65, v7 offset:21056                           // 00000000DFC0: D86C5240 41000007
	ds_read_b32 v66, v7 offset:21120                           // 00000000DFC8: D86C5280 42000007
	ds_read_b32 v67, v7 offset:21184                           // 00000000DFD0: D86C52C0 43000007
	ds_read_b32 v68, v7 offset:21248                           // 00000000DFD8: D86C5300 44000007
	ds_read_b32 v69, v7 offset:21312                           // 00000000DFE0: D86C5340 45000007
	ds_read_b32 v70, v7 offset:21376                           // 00000000DFE8: D86C5380 46000007
	ds_read_b32 v71, v7 offset:21440                           // 00000000DFF0: D86C53C0 47000007
	ds_read_b32 v72, v7 offset:21504                           // 00000000DFF8: D86C5400 48000007
	ds_read_b32 v73, v7 offset:21568                           // 00000000E000: D86C5440 49000007
	ds_read_b32 v74, v7 offset:21632                           // 00000000E008: D86C5480 4A000007
	ds_read_b32 v75, v7 offset:21696                           // 00000000E010: D86C54C0 4B000007
	ds_read_b32 v76, v7 offset:21760                           // 00000000E018: D86C5500 4C000007
	ds_read_b32 v77, v7 offset:21824                           // 00000000E020: D86C5540 4D000007
	ds_read_b32 v78, v7 offset:21888                           // 00000000E028: D86C5580 4E000007
	ds_read_b32 v79, v7 offset:21952                           // 00000000E030: D86C55C0 4F000007
	v_mul_f32_e32 v39, v50, v39                                // 00000000E038: 0A4E4F32
	v_mov_b32_e32 v15, v128                                    // 00000000E03C: 7E1E0380
	v_add_f32_e32 v15, v129, v15                               // 00000000E040: 021E1F81
	v_add_f32_e32 v15, v130, v15                               // 00000000E044: 021E1F82
	v_add_f32_e32 v15, v131, v15                               // 00000000E048: 021E1F83
	v_add_f32_e32 v15, v132, v15                               // 00000000E04C: 021E1F84
	v_add_f32_e32 v15, v133, v15                               // 00000000E050: 021E1F85
	v_add_f32_e32 v15, v134, v15                               // 00000000E054: 021E1F86
	v_add_f32_e32 v15, v135, v15                               // 00000000E058: 021E1F87
	v_add_f32_e32 v15, v136, v15                               // 00000000E05C: 021E1F88
	v_add_f32_e32 v15, v137, v15                               // 00000000E060: 021E1F89
	v_add_f32_e32 v15, v138, v15                               // 00000000E064: 021E1F8A
	v_add_f32_e32 v15, v139, v15                               // 00000000E068: 021E1F8B
	v_add_f32_e32 v15, v140, v15                               // 00000000E06C: 021E1F8C
	v_add_f32_e32 v15, v141, v15                               // 00000000E070: 021E1F8D
	v_add_f32_e32 v15, v142, v15                               // 00000000E074: 021E1F8E
	v_add_f32_e32 v15, v143, v15                               // 00000000E078: 021E1F8F
	v_add_f32_e32 v39, v15, v39                                // 00000000E07C: 024E4F0F
	s_waitcnt lgkmcnt(0)                                       // 00000000E080: BF8CC07F
	v_max3_f32 v48, |v64|, |v65|, v48                          // 00000000E084: D1D30330 04C28340
	v_max3_f32 v48, |v66|, |v67|, v48                          // 00000000E08C: D1D30330 04C28742
	v_max3_f32 v48, |v68|, |v69|, v48                          // 00000000E094: D1D30330 04C28B44
	v_max3_f32 v48, |v70|, |v71|, v48                          // 00000000E09C: D1D30330 04C28F46
	v_max3_f32 v48, |v72|, |v73|, v48                          // 00000000E0A4: D1D30330 04C29348
	v_max3_f32 v48, |v74|, |v75|, v48                          // 00000000E0AC: D1D30330 04C2974A
	v_max3_f32 v48, |v76|, |v77|, v48                          // 00000000E0B4: D1D30330 04C29B4C
	v_max3_f32 v48, |v78|, |v79|, v48                          // 00000000E0BC: D1D30330 04C29F4E
	s_nop 2                                                    // 00000000E0C4: BF800002
	v_rcp_f32_e32 v48, v48                                     // 00000000E0C8: 7E604530
	s_nop 1                                                    // 00000000E0CC: BF800001
	v_mul_f32_e32 v48, 0x43e00000, v48                         // 00000000E0D0: 0A6060FF 43E00000
	v_mul_f32_e32 v128, v48, v240                              // 00000000E0D8: 0B01E130
	v_mul_f32_e32 v129, v48, v241                              // 00000000E0DC: 0B03E330
	v_mul_f32_e32 v130, v48, v242                              // 00000000E0E0: 0B05E530
	v_mul_f32_e32 v131, v48, v243                              // 00000000E0E4: 0B07E730
	v_mul_f32_e32 v132, v48, v244                              // 00000000E0E8: 0B09E930
	v_mul_f32_e32 v133, v48, v245                              // 00000000E0EC: 0B0BEB30
	v_mul_f32_e32 v134, v48, v246                              // 00000000E0F0: 0B0DED30
	v_mul_f32_e32 v135, v48, v247                              // 00000000E0F4: 0B0FEF30
	v_mul_f32_e32 v136, v48, v248                              // 00000000E0F8: 0B11F130
	v_mul_f32_e32 v137, v48, v249                              // 00000000E0FC: 0B13F330
	v_mul_f32_e32 v138, v48, v250                              // 00000000E100: 0B15F530
	v_mul_f32_e32 v139, v48, v251                              // 00000000E104: 0B17F730
	v_mul_f32_e32 v140, v48, v252                              // 00000000E108: 0B19F930
	v_mul_f32_e32 v141, v48, v253                              // 00000000E10C: 0B1BFB30
	v_mul_f32_e32 v142, v48, v254                              // 00000000E110: 0B1DFD30
	v_mul_f32_e32 v143, v48, v255                              // 00000000E114: 0B1FFF30
	v_cvt_pk_fp8_f32 v128, v128, v129                          // 00000000E118: D2A20080 00030380
	v_cvt_pk_fp8_f32 v128, v130, v131 op_sel:[0,0,1]           // 00000000E120: D2A24080 00030782
	v_cvt_pk_fp8_f32 v129, v132, v133                          // 00000000E128: D2A20081 00030B84
	v_cvt_pk_fp8_f32 v129, v134, v135 op_sel:[0,0,1]           // 00000000E130: D2A24081 00030F86
	v_cvt_pk_fp8_f32 v130, v136, v137                          // 00000000E138: D2A20082 00031388
	v_cvt_pk_fp8_f32 v130, v138, v139 op_sel:[0,0,1]           // 00000000E140: D2A24082 0003178A
	v_cvt_pk_fp8_f32 v131, v140, v141                          // 00000000E148: D2A20083 00031B8C
	v_cvt_pk_fp8_f32 v131, v142, v143 op_sel:[0,0,1]           // 00000000E150: D2A24083 00031F8E
	ds_write_b32 v10, v128 offset:29184                        // 00000000E158: D81A7200 0000800A
	ds_write_b32 v10, v129 offset:30208                        // 00000000E160: D81A7600 0000810A
	ds_write_b32 v10, v130 offset:31232                        // 00000000E168: D81A7A00 0000820A
	ds_write_b32 v10, v131 offset:32256                        // 00000000E170: D81A7E00 0000830A
	v_add_f32_e32 v216, v216, v184                             // 00000000E178: 03B171D8
	v_add_f32_e32 v217, v217, v185                             // 00000000E17C: 03B373D9
	v_add_f32_e32 v218, v218, v186                             // 00000000E180: 03B575DA
	v_add_f32_e32 v219, v219, v187                             // 00000000E184: 03B777DB
	v_add_f32_e32 v220, v220, v188                             // 00000000E188: 03B979DC
	v_add_f32_e32 v221, v221, v189                             // 00000000E18C: 03BB7BDD
	v_add_f32_e32 v222, v222, v190                             // 00000000E190: 03BD7DDE
	v_add_f32_e32 v223, v223, v191                             // 00000000E194: 03BF7FDF
	v_rcp_f32_e32 v45, v48                                     // 00000000E198: 7E5A4530
	s_waitcnt lgkmcnt(0)                                       // 00000000E19C: BF8CC07F
	s_barrier                                                  // 00000000E1A0: BF8A0000
	ds_read_b64 v[128:129], v9 offset:29184                    // 00000000E1A4: D8EC7200 80000009
	ds_read_b64 v[130:131], v9 offset:29312                    // 00000000E1AC: D8EC7280 82000009
	ds_read_b64 v[132:133], v9 offset:30208                    // 00000000E1B4: D8EC7600 84000009
	ds_read_b64 v[134:135], v9 offset:30336                    // 00000000E1BC: D8EC7680 86000009
	ds_read_b64 v[136:137], v9 offset:31232                    // 00000000E1C4: D8EC7A00 88000009
	ds_read_b64 v[138:139], v9 offset:31360                    // 00000000E1CC: D8EC7A80 8A000009
	ds_read_b64 v[140:141], v9 offset:32256                    // 00000000E1D4: D8EC7E00 8C000009
	ds_read_b64 v[142:143], v9 offset:32384                    // 00000000E1DC: D8EC7E80 8E000009
	s_waitcnt vmcnt(0)                                         // 00000000E1E4: BF8C0F70
	s_barrier                                                  // 00000000E1E8: BF8A0000
	v_mfma_f32_16x16x32_fp8_fp8 v[176:179], a[64:65], v[112:113], 0// 00000000E1EC: D3F300B0 0A02E140
	v_mfma_f32_16x16x32_fp8_fp8 v[176:179], a[66:67], v[114:115], v[176:179]// 00000000E1F4: D3F300B0 0EC2E542
	v_mfma_f32_16x16x32_fp8_fp8 v[176:179], a[68:69], v[116:117], v[176:179]// 00000000E1FC: D3F300B0 0EC2E944
	v_mfma_f32_16x16x32_fp8_fp8 v[176:179], a[70:71], v[118:119], v[176:179]// 00000000E204: D3F300B0 0EC2ED46
	v_mfma_f32_16x16x32_fp8_fp8 v[176:179], a[72:73], v[120:121], v[176:179]// 00000000E20C: D3F300B0 0EC2F148
	v_mfma_f32_16x16x32_fp8_fp8 v[176:179], a[74:75], v[122:123], v[176:179]// 00000000E214: D3F300B0 0EC2F54A
	v_mfma_f32_16x16x32_fp8_fp8 v[176:179], a[76:77], v[124:125], v[176:179]// 00000000E21C: D3F300B0 0EC2F94C
	v_mfma_f32_16x16x32_fp8_fp8 v[176:179], a[78:79], v[126:127], v[176:179]// 00000000E224: D3F300B0 0EC2FD4E
	v_mfma_f32_16x16x32_fp8_fp8 v[180:183], a[80:81], v[112:113], 0// 00000000E22C: D3F300B4 0A02E150
	v_mfma_f32_16x16x32_fp8_fp8 v[180:183], a[82:83], v[114:115], v[180:183]// 00000000E234: D3F300B4 0ED2E552
	v_mfma_f32_16x16x32_fp8_fp8 v[180:183], a[84:85], v[116:117], v[180:183]// 00000000E23C: D3F300B4 0ED2E954
	v_mfma_f32_16x16x32_fp8_fp8 v[180:183], a[86:87], v[118:119], v[180:183]// 00000000E244: D3F300B4 0ED2ED56
	v_mfma_f32_16x16x32_fp8_fp8 v[180:183], a[88:89], v[120:121], v[180:183]// 00000000E24C: D3F300B4 0ED2F158
	v_mfma_f32_16x16x32_fp8_fp8 v[180:183], a[90:91], v[122:123], v[180:183]// 00000000E254: D3F300B4 0ED2F55A
	v_mfma_f32_16x16x32_fp8_fp8 v[180:183], a[92:93], v[124:125], v[180:183]// 00000000E25C: D3F300B4 0ED2F95C
	v_mfma_f32_16x16x32_fp8_fp8 v[180:183], a[94:95], v[126:127], v[180:183]// 00000000E264: D3F300B4 0ED2FD5E
	v_mfma_f32_16x16x32_fp8_fp8 v[184:187], a[64:65], v[128:129], 0// 00000000E26C: D3F300B8 0A030140
	v_mfma_f32_16x16x32_fp8_fp8 v[184:187], a[66:67], v[130:131], v[184:187]// 00000000E274: D3F300B8 0EE30542
	v_mfma_f32_16x16x32_fp8_fp8 v[184:187], a[68:69], v[132:133], v[184:187]// 00000000E27C: D3F300B8 0EE30944
	v_mfma_f32_16x16x32_fp8_fp8 v[184:187], a[70:71], v[134:135], v[184:187]// 00000000E284: D3F300B8 0EE30D46
	v_mfma_f32_16x16x32_fp8_fp8 v[184:187], a[72:73], v[136:137], v[184:187]// 00000000E28C: D3F300B8 0EE31148
	v_mfma_f32_16x16x32_fp8_fp8 v[184:187], a[74:75], v[138:139], v[184:187]// 00000000E294: D3F300B8 0EE3154A
	v_mfma_f32_16x16x32_fp8_fp8 v[184:187], a[76:77], v[140:141], v[184:187]// 00000000E29C: D3F300B8 0EE3194C
	v_mfma_f32_16x16x32_fp8_fp8 v[184:187], a[78:79], v[142:143], v[184:187]// 00000000E2A4: D3F300B8 0EE31D4E
	v_mfma_f32_16x16x32_fp8_fp8 v[188:191], a[80:81], v[128:129], 0// 00000000E2AC: D3F300BC 0A030150
	v_mfma_f32_16x16x32_fp8_fp8 v[188:191], a[82:83], v[130:131], v[188:191]// 00000000E2B4: D3F300BC 0EF30552
	v_mfma_f32_16x16x32_fp8_fp8 v[188:191], a[84:85], v[132:133], v[188:191]// 00000000E2BC: D3F300BC 0EF30954
	v_mfma_f32_16x16x32_fp8_fp8 v[188:191], a[86:87], v[134:135], v[188:191]// 00000000E2C4: D3F300BC 0EF30D56
	v_mfma_f32_16x16x32_fp8_fp8 v[188:191], a[88:89], v[136:137], v[188:191]// 00000000E2CC: D3F300BC 0EF31158
	v_mfma_f32_16x16x32_fp8_fp8 v[188:191], a[90:91], v[138:139], v[188:191]// 00000000E2D4: D3F300BC 0EF3155A
	v_mfma_f32_16x16x32_fp8_fp8 v[188:191], a[92:93], v[140:141], v[188:191]// 00000000E2DC: D3F300BC 0EF3195C
	v_mfma_f32_16x16x32_fp8_fp8 v[188:191], a[94:95], v[142:143], v[188:191]// 00000000E2E4: D3F300BC 0EF31D5E
	s_nop 4                                                    // 00000000E2EC: BF800004
	s_branch label_35FE                                        // 00000000E2F0: BF8205C1

000000000000e2f4 <label_303D>:
	s_waitcnt vmcnt(8) lgkmcnt(0)                              // 00000000E2F4: BF8C0078
	s_barrier                                                  // 00000000E2F8: BF8A0000
	v_mfma_f32_16x16x32_fp8_fp8 v[112:115], a[32:33], v[80:81], 0// 00000000E2FC: D3F30070 0A02A120
	v_mfma_f32_16x16x32_fp8_fp8 v[112:115], a[34:35], v[82:83], v[112:115]// 00000000E304: D3F30070 0DC2A522
	v_mfma_f32_16x16x32_fp8_fp8 v[112:115], a[36:37], v[84:85], v[112:115]// 00000000E30C: D3F30070 0DC2A924
	v_mfma_f32_16x16x32_fp8_fp8 v[112:115], a[38:39], v[86:87], v[112:115]// 00000000E314: D3F30070 0DC2AD26
	v_mfma_f32_16x16x32_fp8_fp8 v[116:119], a[40:41], v[80:81], 0// 00000000E31C: D3F30074 0A02A128
	v_mfma_f32_16x16x32_fp8_fp8 v[116:119], a[42:43], v[82:83], v[116:119]// 00000000E324: D3F30074 0DD2A52A
	v_mfma_f32_16x16x32_fp8_fp8 v[116:119], a[44:45], v[84:85], v[116:119]// 00000000E32C: D3F30074 0DD2A92C
	v_mfma_f32_16x16x32_fp8_fp8 v[116:119], a[46:47], v[86:87], v[116:119]// 00000000E334: D3F30074 0DD2AD2E
	v_mfma_f32_16x16x32_fp8_fp8 v[120:123], a[48:49], v[80:81], 0// 00000000E33C: D3F30078 0A02A130
	v_mfma_f32_16x16x32_fp8_fp8 v[120:123], a[50:51], v[82:83], v[120:123]// 00000000E344: D3F30078 0DE2A532
	v_mfma_f32_16x16x32_fp8_fp8 v[120:123], a[52:53], v[84:85], v[120:123]// 00000000E34C: D3F30078 0DE2A934
	v_mfma_f32_16x16x32_fp8_fp8 v[120:123], a[54:55], v[86:87], v[120:123]// 00000000E354: D3F30078 0DE2AD36
	v_mfma_f32_16x16x32_fp8_fp8 v[124:127], a[56:57], v[80:81], 0// 00000000E35C: D3F3007C 0A02A138
	v_mfma_f32_16x16x32_fp8_fp8 v[124:127], a[58:59], v[82:83], v[124:127]// 00000000E364: D3F3007C 0DF2A53A
	v_mfma_f32_16x16x32_fp8_fp8 v[124:127], a[60:61], v[84:85], v[124:127]// 00000000E36C: D3F3007C 0DF2A93C
	v_mfma_f32_16x16x32_fp8_fp8 v[124:127], a[62:63], v[86:87], v[124:127]// 00000000E374: D3F3007C 0DF2AD3E
	v_mfma_f32_16x16x32_fp8_fp8 v[128:131], a[32:33], v[88:89], 0// 00000000E37C: D3F30080 0A02B120
	v_mfma_f32_16x16x32_fp8_fp8 v[128:131], a[34:35], v[90:91], v[128:131]// 00000000E384: D3F30080 0E02B522
	v_mfma_f32_16x16x32_fp8_fp8 v[128:131], a[36:37], v[92:93], v[128:131]// 00000000E38C: D3F30080 0E02B924
	v_mfma_f32_16x16x32_fp8_fp8 v[128:131], a[38:39], v[94:95], v[128:131]// 00000000E394: D3F30080 0E02BD26
	v_mfma_f32_16x16x32_fp8_fp8 v[132:135], a[40:41], v[88:89], 0// 00000000E39C: D3F30084 0A02B128
	v_mfma_f32_16x16x32_fp8_fp8 v[132:135], a[42:43], v[90:91], v[132:135]// 00000000E3A4: D3F30084 0E12B52A
	v_mfma_f32_16x16x32_fp8_fp8 v[132:135], a[44:45], v[92:93], v[132:135]// 00000000E3AC: D3F30084 0E12B92C
	v_mfma_f32_16x16x32_fp8_fp8 v[132:135], a[46:47], v[94:95], v[132:135]// 00000000E3B4: D3F30084 0E12BD2E
	v_mfma_f32_16x16x32_fp8_fp8 v[136:139], a[48:49], v[88:89], 0// 00000000E3BC: D3F30088 0A02B130
	v_mfma_f32_16x16x32_fp8_fp8 v[136:139], a[50:51], v[90:91], v[136:139]// 00000000E3C4: D3F30088 0E22B532
	v_mfma_f32_16x16x32_fp8_fp8 v[136:139], a[52:53], v[92:93], v[136:139]// 00000000E3CC: D3F30088 0E22B934
	v_mfma_f32_16x16x32_fp8_fp8 v[136:139], a[54:55], v[94:95], v[136:139]// 00000000E3D4: D3F30088 0E22BD36
	v_mfma_f32_16x16x32_fp8_fp8 v[140:143], a[56:57], v[88:89], 0// 00000000E3DC: D3F3008C 0A02B138
	v_mfma_f32_16x16x32_fp8_fp8 v[140:143], a[58:59], v[90:91], v[140:143]// 00000000E3E4: D3F3008C 0E32B53A
	v_mfma_f32_16x16x32_fp8_fp8 v[140:143], a[60:61], v[92:93], v[140:143]// 00000000E3EC: D3F3008C 0E32B93C
	v_mfma_f32_16x16x32_fp8_fp8 v[140:143], a[62:63], v[94:95], v[140:143]// 00000000E3F4: D3F3008C 0E32BD3E
	v_mov_b32_dpp v64, v43 row_shr:4 row_mask:0xf bank_mask:0xf// 00000000E3FC: 7E8002FA FF01142B
	v_mov_b32_dpp v65, v43 row_shl:4 row_mask:0xf bank_mask:0xf// 00000000E404: 7E8202FA FF01042B
	v_cndmask_b32_e64 v248, v43, v64, s[44:45]                 // 00000000E40C: D10000F8 00B2812B
	v_cndmask_b32_e64 v249, v65, v43, s[44:45]                 // 00000000E414: D10000F9 00B25741
	v_mov_b32_dpp v64, v248 row_shr:8 row_mask:0xf bank_mask:0xf// 00000000E41C: 7E8002FA FF0118F8
	v_mov_b32_dpp v65, v248 row_shl:8 row_mask:0xf bank_mask:0xf// 00000000E424: 7E8202FA FF0108F8
	v_mov_b32_dpp v66, v249 row_shr:8 row_mask:0xf bank_mask:0xf// 00000000E42C: 7E8402FA FF0118F9
	v_mov_b32_dpp v67, v249 row_shl:8 row_mask:0xf bank_mask:0xf// 00000000E434: 7E8602FA FF0108F9
	v_mov_b32_e32 v68, v248                                    // 00000000E43C: 7E8803F8
	v_mov_b32_e32 v69, v249                                    // 00000000E440: 7E8A03F9
	v_cndmask_b32_e64 v248, v68, v64, s[42:43]                 // 00000000E444: D10000F8 00AA8144
	v_cndmask_b32_e64 v250, v68, v65, s[78:79]                 // 00000000E44C: D10000FA 013A8344
	v_cndmask_b32_e64 v249, v69, v66, s[42:43]                 // 00000000E454: D10000F9 00AA8545
	v_cndmask_b32_e64 v251, v69, v67, s[78:79]                 // 00000000E45C: D10000FB 013A8745
	v_mov_b32_dpp v64, v58 row_shr:4 row_mask:0xf bank_mask:0xf// 00000000E464: 7E8002FA FF01143A
	v_mov_b32_dpp v65, v58 row_shl:4 row_mask:0xf bank_mask:0xf// 00000000E46C: 7E8202FA FF01043A
	v_cndmask_b32_e64 v252, v58, v64, s[44:45]                 // 00000000E474: D10000FC 00B2813A
	v_cndmask_b32_e64 v253, v65, v58, s[44:45]                 // 00000000E47C: D10000FD 00B27541
	v_mov_b32_dpp v64, v252 row_shr:8 row_mask:0xf bank_mask:0xf// 00000000E484: 7E8002FA FF0118FC
	v_mov_b32_dpp v65, v252 row_shl:8 row_mask:0xf bank_mask:0xf// 00000000E48C: 7E8202FA FF0108FC
	v_mov_b32_dpp v66, v253 row_shr:8 row_mask:0xf bank_mask:0xf// 00000000E494: 7E8402FA FF0118FD
	v_mov_b32_dpp v67, v253 row_shl:8 row_mask:0xf bank_mask:0xf// 00000000E49C: 7E8602FA FF0108FD
	v_mov_b32_e32 v68, v252                                    // 00000000E4A4: 7E8803FC
	v_mov_b32_e32 v69, v253                                    // 00000000E4A8: 7E8A03FD
	v_cndmask_b32_e64 v252, v68, v64, s[42:43]                 // 00000000E4AC: D10000FC 00AA8144
	v_cndmask_b32_e64 v254, v68, v65, s[78:79]                 // 00000000E4B4: D10000FE 013A8344
	v_cndmask_b32_e64 v253, v69, v66, s[42:43]                 // 00000000E4BC: D10000FD 00AA8545
	v_cndmask_b32_e64 v255, v69, v67, s[78:79]                 // 00000000E4C4: D10000FF 013A8745
	v_mul_f32_e32 v112, v18, v112                              // 00000000E4CC: 0AE0E112
	v_mul_f32_e32 v113, v18, v113                              // 00000000E4D0: 0AE2E312
	v_mul_f32_e32 v114, v18, v114                              // 00000000E4D4: 0AE4E512
	v_mul_f32_e32 v115, v18, v115                              // 00000000E4D8: 0AE6E712
	v_mul_f32_e32 v116, v18, v116                              // 00000000E4DC: 0AE8E912
	v_mul_f32_e32 v117, v18, v117                              // 00000000E4E0: 0AEAEB12
	v_mul_f32_e32 v118, v18, v118                              // 00000000E4E4: 0AECED12
	v_mul_f32_e32 v119, v18, v119                              // 00000000E4E8: 0AEEEF12
	v_mul_f32_e32 v120, v18, v120                              // 00000000E4EC: 0AF0F112
	v_mul_f32_e32 v121, v18, v121                              // 00000000E4F0: 0AF2F312
	v_mul_f32_e32 v122, v18, v122                              // 00000000E4F4: 0AF4F512
	v_mul_f32_e32 v123, v18, v123                              // 00000000E4F8: 0AF6F712
	v_mul_f32_e32 v124, v18, v124                              // 00000000E4FC: 0AF8F912
	v_mul_f32_e32 v125, v18, v125                              // 00000000E500: 0AFAFB12
	v_mul_f32_e32 v126, v18, v126                              // 00000000E504: 0AFCFD12
	v_mul_f32_e32 v127, v18, v127                              // 00000000E508: 0AFEFF12
	v_mul_f32_dpp v112, v248, v112 quad_perm:[0,0,0,0] row_mask:0xf bank_mask:0xf// 00000000E50C: 0AE0E0FA FF0000F8
	v_mul_f32_dpp v113, v248, v113 quad_perm:[1,1,1,1] row_mask:0xf bank_mask:0xf// 00000000E514: 0AE2E2FA FF0055F8
	v_mul_f32_dpp v114, v248, v114 quad_perm:[2,2,2,2] row_mask:0xf bank_mask:0xf// 00000000E51C: 0AE4E4FA FF00AAF8
	v_mul_f32_dpp v115, v248, v115 quad_perm:[3,3,3,3] row_mask:0xf bank_mask:0xf// 00000000E524: 0AE6E6FA FF00FFF8
	v_mul_f32_dpp v116, v249, v116 quad_perm:[0,0,0,0] row_mask:0xf bank_mask:0xf// 00000000E52C: 0AE8E8FA FF0000F9
	v_mul_f32_dpp v117, v249, v117 quad_perm:[1,1,1,1] row_mask:0xf bank_mask:0xf// 00000000E534: 0AEAEAFA FF0055F9
	v_mul_f32_dpp v118, v249, v118 quad_perm:[2,2,2,2] row_mask:0xf bank_mask:0xf// 00000000E53C: 0AECECFA FF00AAF9
	v_mul_f32_dpp v119, v249, v119 quad_perm:[3,3,3,3] row_mask:0xf bank_mask:0xf// 00000000E544: 0AEEEEFA FF00FFF9
	v_mul_f32_dpp v120, v250, v120 quad_perm:[0,0,0,0] row_mask:0xf bank_mask:0xf// 00000000E54C: 0AF0F0FA FF0000FA
	v_mul_f32_dpp v121, v250, v121 quad_perm:[1,1,1,1] row_mask:0xf bank_mask:0xf// 00000000E554: 0AF2F2FA FF0055FA
	v_mul_f32_dpp v122, v250, v122 quad_perm:[2,2,2,2] row_mask:0xf bank_mask:0xf// 00000000E55C: 0AF4F4FA FF00AAFA
	v_mul_f32_dpp v123, v250, v123 quad_perm:[3,3,3,3] row_mask:0xf bank_mask:0xf// 00000000E564: 0AF6F6FA FF00FFFA
	v_mul_f32_dpp v124, v251, v124 quad_perm:[0,0,0,0] row_mask:0xf bank_mask:0xf// 00000000E56C: 0AF8F8FA FF0000FB
	v_mul_f32_dpp v125, v251, v125 quad_perm:[1,1,1,1] row_mask:0xf bank_mask:0xf// 00000000E574: 0AFAFAFA FF0055FB
	v_mul_f32_dpp v126, v251, v126 quad_perm:[2,2,2,2] row_mask:0xf bank_mask:0xf// 00000000E57C: 0AFCFCFA FF00AAFB
	v_mul_f32_dpp v127, v251, v127 quad_perm:[3,3,3,3] row_mask:0xf bank_mask:0xf// 00000000E584: 0AFEFEFA FF00FFFB
	s_cmp_le_i32 s90, s89                                      // 00000000E58C: BF05595A
	s_cbranch_scc1 label_3156                                  // 00000000E590: BF850071
	v_mov_b32_e32 v66, 0xff800000                              // 00000000E594: 7E8402FF FF800000
	s_mov_b32 s60, s90                                         // 00000000E59C: BEBC005A
	s_add_u32 s61, s89, 0xff                                   // 00000000E5A0: 803DFF59 000000FF
	v_mov_b32_e32 v64, s61                                     // 00000000E5A8: 7E80023D
	v_lshrrev_b32_e32 v240, 4, v0                              // 00000000E5AC: 21E00084
	v_mul_i32_i24_e32 v240, 4, v240                            // 00000000E5B0: 0DE1E084
	v_add_u32_e32 v240, s60, v240                              // 00000000E5B4: 69E1E03C
	s_mov_b32 s61, 0                                           // 00000000E5B8: BEBD0080
	s_mul_i32 s60, 16, s7                                      // 00000000E5BC: 923C0790
	v_sub_u32_e64 v240, v240, s61                              // 00000000E5C0: D13500F0 00007BF0
	v_add_u32_e32 v240, s60, v240                              // 00000000E5C8: 69E1E03C
	v_add_u32_e32 v241, 1, v240                                // 00000000E5CC: 69E3E081
	v_add_u32_e32 v242, 2, v240                                // 00000000E5D0: 69E5E082
	v_add_u32_e32 v243, 3, v240                                // 00000000E5D4: 69E7E083
	v_cmp_le_u32_e64 s[40:41], v240, v64                       // 00000000E5D8: D0CB0028 000281F0
	v_add_u32_e32 v240, 64, v240                               // 00000000E5E0: 69E1E0C0
	s_nop 0                                                    // 00000000E5E4: BF800000
	v_cndmask_b32_e64 v112, v66, v112, s[40:41]                // 00000000E5E8: D1000070 00A2E142
	v_cmp_le_u32_e64 s[40:41], v241, v64                       // 00000000E5F0: D0CB0028 000281F1
	v_add_u32_e32 v241, 64, v241                               // 00000000E5F8: 69E3E2C0
	s_nop 0                                                    // 00000000E5FC: BF800000
	v_cndmask_b32_e64 v113, v66, v113, s[40:41]                // 00000000E600: D1000071 00A2E342
	v_cmp_le_u32_e64 s[40:41], v242, v64                       // 00000000E608: D0CB0028 000281F2
	v_add_u32_e32 v242, 64, v242                               // 00000000E610: 69E5E4C0
	s_nop 0                                                    // 00000000E614: BF800000
	v_cndmask_b32_e64 v114, v66, v114, s[40:41]                // 00000000E618: D1000072 00A2E542
	v_cmp_le_u32_e64 s[40:41], v243, v64                       // 00000000E620: D0CB0028 000281F3
	v_add_u32_e32 v243, 64, v243                               // 00000000E628: 69E7E6C0
	s_nop 0                                                    // 00000000E62C: BF800000
	v_cndmask_b32_e64 v115, v66, v115, s[40:41]                // 00000000E630: D1000073 00A2E742
	v_cmp_le_u32_e64 s[40:41], v240, v64                       // 00000000E638: D0CB0028 000281F0
	v_add_u32_e32 v240, 64, v240                               // 00000000E640: 69E1E0C0
	s_nop 0                                                    // 00000000E644: BF800000
	v_cndmask_b32_e64 v116, v66, v116, s[40:41]                // 00000000E648: D1000074 00A2E942
	v_cmp_le_u32_e64 s[40:41], v241, v64                       // 00000000E650: D0CB0028 000281F1
	v_add_u32_e32 v241, 64, v241                               // 00000000E658: 69E3E2C0
	s_nop 0                                                    // 00000000E65C: BF800000
	v_cndmask_b32_e64 v117, v66, v117, s[40:41]                // 00000000E660: D1000075 00A2EB42
	v_cmp_le_u32_e64 s[40:41], v242, v64                       // 00000000E668: D0CB0028 000281F2
	v_add_u32_e32 v242, 64, v242                               // 00000000E670: 69E5E4C0
	s_nop 0                                                    // 00000000E674: BF800000
	v_cndmask_b32_e64 v118, v66, v118, s[40:41]                // 00000000E678: D1000076 00A2ED42
	v_cmp_le_u32_e64 s[40:41], v243, v64                       // 00000000E680: D0CB0028 000281F3
	v_add_u32_e32 v243, 64, v243                               // 00000000E688: 69E7E6C0
	s_nop 0                                                    // 00000000E68C: BF800000
	v_cndmask_b32_e64 v119, v66, v119, s[40:41]                // 00000000E690: D1000077 00A2EF42
	v_cmp_le_u32_e64 s[40:41], v240, v64                       // 00000000E698: D0CB0028 000281F0
	v_add_u32_e32 v240, 64, v240                               // 00000000E6A0: 69E1E0C0
	s_nop 0                                                    // 00000000E6A4: BF800000
	v_cndmask_b32_e64 v120, v66, v120, s[40:41]                // 00000000E6A8: D1000078 00A2F142
	v_cmp_le_u32_e64 s[40:41], v241, v64                       // 00000000E6B0: D0CB0028 000281F1
	v_add_u32_e32 v241, 64, v241                               // 00000000E6B8: 69E3E2C0
	s_nop 0                                                    // 00000000E6BC: BF800000
	v_cndmask_b32_e64 v121, v66, v121, s[40:41]                // 00000000E6C0: D1000079 00A2F342
	v_cmp_le_u32_e64 s[40:41], v242, v64                       // 00000000E6C8: D0CB0028 000281F2
	v_add_u32_e32 v242, 64, v242                               // 00000000E6D0: 69E5E4C0
	s_nop 0                                                    // 00000000E6D4: BF800000
	v_cndmask_b32_e64 v122, v66, v122, s[40:41]                // 00000000E6D8: D100007A 00A2F542
	v_cmp_le_u32_e64 s[40:41], v243, v64                       // 00000000E6E0: D0CB0028 000281F3
	v_add_u32_e32 v243, 64, v243                               // 00000000E6E8: 69E7E6C0
	s_nop 0                                                    // 00000000E6EC: BF800000
	v_cndmask_b32_e64 v123, v66, v123, s[40:41]                // 00000000E6F0: D100007B 00A2F742
	v_cmp_le_u32_e64 s[40:41], v240, v64                       // 00000000E6F8: D0CB0028 000281F0
	v_add_u32_e32 v240, 64, v240                               // 00000000E700: 69E1E0C0
	s_nop 0                                                    // 00000000E704: BF800000
	v_cndmask_b32_e64 v124, v66, v124, s[40:41]                // 00000000E708: D100007C 00A2F942
	v_cmp_le_u32_e64 s[40:41], v241, v64                       // 00000000E710: D0CB0028 000281F1
	v_add_u32_e32 v241, 64, v241                               // 00000000E718: 69E3E2C0
	s_nop 0                                                    // 00000000E71C: BF800000
	v_cndmask_b32_e64 v125, v66, v125, s[40:41]                // 00000000E720: D100007D 00A2FB42
	v_cmp_le_u32_e64 s[40:41], v242, v64                       // 00000000E728: D0CB0028 000281F2
	v_add_u32_e32 v242, 64, v242                               // 00000000E730: 69E5E4C0
	s_nop 0                                                    // 00000000E734: BF800000
	v_cndmask_b32_e64 v126, v66, v126, s[40:41]                // 00000000E738: D100007E 00A2FD42
	v_cmp_le_u32_e64 s[40:41], v243, v64                       // 00000000E740: D0CB0028 000281F3
	v_add_u32_e32 v243, 64, v243                               // 00000000E748: 69E7E6C0
	s_nop 0                                                    // 00000000E74C: BF800000
	v_cndmask_b32_e64 v127, v66, v127, s[40:41]                // 00000000E750: D100007F 00A2FF42

000000000000e758 <label_3156>:
	s_and_b32 s60, s72, 0xff                                   // 00000000E758: 863CFF48 000000FF
	v_mov_b32_e32 v65, s60                                     // 00000000E760: 7E82023C
	v_lshrrev_b32_e32 v240, 4, v0                              // 00000000E764: 21E00084
	v_mul_i32_i24_e32 v240, 4, v240                            // 00000000E768: 0DE1E084
	s_mul_i32 s60, s7, 16                                      // 00000000E76C: 923C9007
	v_add_u32_e32 v240, s60, v240                              // 00000000E770: 69E1E03C
	v_add_u32_e32 v241, 1, v240                                // 00000000E774: 69E3E081
	v_add_u32_e32 v242, 2, v240                                // 00000000E778: 69E5E082
	v_add_u32_e32 v243, 3, v240                                // 00000000E77C: 69E7E083
	v_mov_b32_e32 v64, 0xff800000                              // 00000000E780: 7E8002FF FF800000
	v_cmp_lt_u32_e64 s[40:41], v240, v65                       // 00000000E788: D0C90028 000283F0
	v_add_u32_e32 v240, 64, v240                               // 00000000E790: 69E1E0C0
	s_nop 0                                                    // 00000000E794: BF800000
	v_cndmask_b32_e64 v112, v64, v112, s[40:41]                // 00000000E798: D1000070 00A2E140
	v_cmp_lt_u32_e64 s[40:41], v241, v65                       // 00000000E7A0: D0C90028 000283F1
	v_add_u32_e32 v241, 64, v241                               // 00000000E7A8: 69E3E2C0
	s_nop 0                                                    // 00000000E7AC: BF800000
	v_cndmask_b32_e64 v113, v64, v113, s[40:41]                // 00000000E7B0: D1000071 00A2E340
	v_cmp_lt_u32_e64 s[40:41], v242, v65                       // 00000000E7B8: D0C90028 000283F2
	v_add_u32_e32 v242, 64, v242                               // 00000000E7C0: 69E5E4C0
	s_nop 0                                                    // 00000000E7C4: BF800000
	v_cndmask_b32_e64 v114, v64, v114, s[40:41]                // 00000000E7C8: D1000072 00A2E540
	v_cmp_lt_u32_e64 s[40:41], v243, v65                       // 00000000E7D0: D0C90028 000283F3
	v_add_u32_e32 v243, 64, v243                               // 00000000E7D8: 69E7E6C0
	s_nop 0                                                    // 00000000E7DC: BF800000
	v_cndmask_b32_e64 v115, v64, v115, s[40:41]                // 00000000E7E0: D1000073 00A2E740
	v_cmp_lt_u32_e64 s[40:41], v240, v65                       // 00000000E7E8: D0C90028 000283F0
	v_add_u32_e32 v240, 64, v240                               // 00000000E7F0: 69E1E0C0
	s_nop 0                                                    // 00000000E7F4: BF800000
	v_cndmask_b32_e64 v116, v64, v116, s[40:41]                // 00000000E7F8: D1000074 00A2E940
	v_cmp_lt_u32_e64 s[40:41], v241, v65                       // 00000000E800: D0C90028 000283F1
	v_add_u32_e32 v241, 64, v241                               // 00000000E808: 69E3E2C0
	s_nop 0                                                    // 00000000E80C: BF800000
	v_cndmask_b32_e64 v117, v64, v117, s[40:41]                // 00000000E810: D1000075 00A2EB40
	v_cmp_lt_u32_e64 s[40:41], v242, v65                       // 00000000E818: D0C90028 000283F2
	v_add_u32_e32 v242, 64, v242                               // 00000000E820: 69E5E4C0
	s_nop 0                                                    // 00000000E824: BF800000
	v_cndmask_b32_e64 v118, v64, v118, s[40:41]                // 00000000E828: D1000076 00A2ED40
	v_cmp_lt_u32_e64 s[40:41], v243, v65                       // 00000000E830: D0C90028 000283F3
	v_add_u32_e32 v243, 64, v243                               // 00000000E838: 69E7E6C0
	s_nop 0                                                    // 00000000E83C: BF800000
	v_cndmask_b32_e64 v119, v64, v119, s[40:41]                // 00000000E840: D1000077 00A2EF40
	v_cmp_lt_u32_e64 s[40:41], v240, v65                       // 00000000E848: D0C90028 000283F0
	v_add_u32_e32 v240, 64, v240                               // 00000000E850: 69E1E0C0
	s_nop 0                                                    // 00000000E854: BF800000
	v_cndmask_b32_e64 v120, v64, v120, s[40:41]                // 00000000E858: D1000078 00A2F140
	v_cmp_lt_u32_e64 s[40:41], v241, v65                       // 00000000E860: D0C90028 000283F1
	v_add_u32_e32 v241, 64, v241                               // 00000000E868: 69E3E2C0
	s_nop 0                                                    // 00000000E86C: BF800000
	v_cndmask_b32_e64 v121, v64, v121, s[40:41]                // 00000000E870: D1000079 00A2F340
	v_cmp_lt_u32_e64 s[40:41], v242, v65                       // 00000000E878: D0C90028 000283F2
	v_add_u32_e32 v242, 64, v242                               // 00000000E880: 69E5E4C0
	s_nop 0                                                    // 00000000E884: BF800000
	v_cndmask_b32_e64 v122, v64, v122, s[40:41]                // 00000000E888: D100007A 00A2F540
	v_cmp_lt_u32_e64 s[40:41], v243, v65                       // 00000000E890: D0C90028 000283F3
	v_add_u32_e32 v243, 64, v243                               // 00000000E898: 69E7E6C0
	s_nop 0                                                    // 00000000E89C: BF800000
	v_cndmask_b32_e64 v123, v64, v123, s[40:41]                // 00000000E8A0: D100007B 00A2F740
	v_cmp_lt_u32_e64 s[40:41], v240, v65                       // 00000000E8A8: D0C90028 000283F0
	v_add_u32_e32 v240, 64, v240                               // 00000000E8B0: 69E1E0C0
	s_nop 0                                                    // 00000000E8B4: BF800000
	v_cndmask_b32_e64 v124, v64, v124, s[40:41]                // 00000000E8B8: D100007C 00A2F940
	v_cmp_lt_u32_e64 s[40:41], v241, v65                       // 00000000E8C0: D0C90028 000283F1
	v_add_u32_e32 v241, 64, v241                               // 00000000E8C8: 69E3E2C0
	s_nop 0                                                    // 00000000E8CC: BF800000
	v_cndmask_b32_e64 v125, v64, v125, s[40:41]                // 00000000E8D0: D100007D 00A2FB40
	v_cmp_lt_u32_e64 s[40:41], v242, v65                       // 00000000E8D8: D0C90028 000283F2
	v_add_u32_e32 v242, 64, v242                               // 00000000E8E0: 69E5E4C0
	s_nop 0                                                    // 00000000E8E4: BF800000
	v_cndmask_b32_e64 v126, v64, v126, s[40:41]                // 00000000E8E8: D100007E 00A2FD40
	v_cmp_lt_u32_e64 s[40:41], v243, v65                       // 00000000E8F0: D0C90028 000283F3
	v_add_u32_e32 v243, 64, v243                               // 00000000E8F8: 69E7E6C0
	s_nop 0                                                    // 00000000E8FC: BF800000
	v_cndmask_b32_e64 v127, v64, v127, s[40:41]                // 00000000E900: D100007F 00A2FF40
	v_mov_b32_e32 v48, v112                                    // 00000000E908: 7E600370
	v_max3_f32 v48, v112, v113, v48                            // 00000000E90C: D1D30030 04C2E370
	v_max3_f32 v48, v114, v115, v48                            // 00000000E914: D1D30030 04C2E772
	v_max3_f32 v48, v116, v117, v48                            // 00000000E91C: D1D30030 04C2EB74
	v_max3_f32 v48, v118, v119, v48                            // 00000000E924: D1D30030 04C2EF76
	v_max3_f32 v48, v120, v121, v48                            // 00000000E92C: D1D30030 04C2F378
	v_max3_f32 v48, v122, v123, v48                            // 00000000E934: D1D30030 04C2F77A
	v_max3_f32 v48, v124, v125, v48                            // 00000000E93C: D1D30030 04C2FB7C
	v_max3_f32 v48, v126, v127, v48                            // 00000000E944: D1D30030 04C2FF7E
	ds_write_b32 v8, v48 offset:16896                          // 00000000E94C: D81A4200 00003008
	v_mul_u32_u24_dpp v64, v16, v54 row_newbcast:1 row_mask:0xf bank_mask:0xf// 00000000E954: 10806CFA FF015110
	v_mul_u32_u24_dpp v65, v16, v54 row_newbcast:5 row_mask:0xf bank_mask:0xf// 00000000E95C: 10826CFA FF015510
	v_mul_u32_u24_dpp v66, v16, v54 row_newbcast:9 row_mask:0xf bank_mask:0xf// 00000000E964: 10846CFA FF015910
	v_mul_u32_u24_dpp v67, v16, v54 row_newbcast:13 row_mask:0xf bank_mask:0xf// 00000000E96C: 10866CFA FF015D10
	v_add_u32_e32 v30, v64, v6                                 // 00000000E974: 683C0D40
	v_add_u32_e32 v31, v65, v6                                 // 00000000E978: 683E0D41
	v_add_u32_e32 v32, v66, v6                                 // 00000000E97C: 68400D42
	v_add_u32_e32 v33, v67, v6                                 // 00000000E980: 68420D43
	v_mul_f32_e32 v208, v49, v208                              // 00000000E984: 0BA1A131
	v_mul_f32_e32 v209, v49, v209                              // 00000000E988: 0BA3A331
	v_mul_f32_e32 v210, v49, v210                              // 00000000E98C: 0BA5A531
	v_mul_f32_e32 v211, v49, v211                              // 00000000E990: 0BA7A731
	v_mul_f32_e32 v212, v49, v212                              // 00000000E994: 0BA9A931
	v_mul_f32_e32 v213, v49, v213                              // 00000000E998: 0BABAB31
	v_mul_f32_e32 v214, v49, v214                              // 00000000E99C: 0BADAD31
	v_mul_f32_e32 v215, v49, v215                              // 00000000E9A0: 0BAFAF31
	s_waitcnt lgkmcnt(0)                                       // 00000000E9A4: BF8CC07F
	s_barrier                                                  // 00000000E9A8: BF8A0000
	ds_read_b32 v64, v7 offset:16896                           // 00000000E9AC: D86C4200 40000007
	ds_read_b32 v65, v7 offset:16960                           // 00000000E9B4: D86C4240 41000007
	ds_read_b32 v66, v7 offset:17024                           // 00000000E9BC: D86C4280 42000007
	ds_read_b32 v67, v7 offset:17088                           // 00000000E9C4: D86C42C0 43000007
	ds_read_b32 v68, v7 offset:17152                           // 00000000E9CC: D86C4300 44000007
	ds_read_b32 v69, v7 offset:17216                           // 00000000E9D4: D86C4340 45000007
	ds_read_b32 v70, v7 offset:17280                           // 00000000E9DC: D86C4380 46000007
	ds_read_b32 v71, v7 offset:17344                           // 00000000E9E4: D86C43C0 47000007
	ds_read_b32 v72, v7 offset:17408                           // 00000000E9EC: D86C4400 48000007
	ds_read_b32 v73, v7 offset:17472                           // 00000000E9F4: D86C4440 49000007
	ds_read_b32 v74, v7 offset:17536                           // 00000000E9FC: D86C4480 4A000007
	ds_read_b32 v75, v7 offset:17600                           // 00000000EA04: D86C44C0 4B000007
	ds_read_b32 v76, v7 offset:17664                           // 00000000EA0C: D86C4500 4C000007
	ds_read_b32 v77, v7 offset:17728                           // 00000000EA14: D86C4540 4D000007
	ds_read_b32 v78, v7 offset:17792                           // 00000000EA1C: D86C4580 4E000007
	ds_read_b32 v79, v7 offset:17856                           // 00000000EA24: D86C45C0 4F000007
	v_mul_f32_e32 v176, v44, v176                              // 00000000EA2C: 0B61612C
	v_mul_f32_e32 v177, v44, v177                              // 00000000EA30: 0B63632C
	v_mul_f32_e32 v178, v44, v178                              // 00000000EA34: 0B65652C
	v_mul_f32_e32 v179, v44, v179                              // 00000000EA38: 0B67672C
	v_mul_f32_e32 v180, v44, v180                              // 00000000EA3C: 0B69692C
	v_mul_f32_e32 v181, v44, v181                              // 00000000EA40: 0B6B6B2C
	v_mul_f32_e32 v182, v44, v182                              // 00000000EA44: 0B6D6D2C
	v_mul_f32_e32 v183, v44, v183                              // 00000000EA48: 0B6F6F2C
	s_waitcnt lgkmcnt(0)                                       // 00000000EA4C: BF8CC07F
	v_max3_f32 v48, v64, v65, v48                              // 00000000EA50: D1D30030 04C28340
	v_max3_f32 v48, v66, v67, v48                              // 00000000EA58: D1D30030 04C28742
	v_max3_f32 v48, v68, v69, v48                              // 00000000EA60: D1D30030 04C28B44
	v_max3_f32 v48, v70, v71, v48                              // 00000000EA68: D1D30030 04C28F46
	v_max3_f32 v48, v72, v73, v48                              // 00000000EA70: D1D30030 04C29348
	v_max3_f32 v48, v74, v75, v48                              // 00000000EA78: D1D30030 04C2974A
	v_max3_f32 v48, v76, v77, v48                              // 00000000EA80: D1D30030 04C29B4C
	v_max3_f32 v48, v78, v79, v48                              // 00000000EA88: D1D30030 04C29F4E
	v_mov_b32_e32 v64, 0xff800000                              // 00000000EA90: 7E8002FF FF800000
	v_cmp_eq_u32_e64 s[40:41], v64, v11                        // 00000000EA98: D0CA0028 00021740
	s_nop 1                                                    // 00000000EAA0: BF800001
	v_max_f32_e32 v15, v48, v11                                // 00000000EAA4: 161E1730
	v_mul_f32_e32 v53, s64, v15                                // 00000000EAA8: 0A6A1E40
	v_fma_f32 v112, v112, s64, -v53                            // 00000000EAAC: D1CB0070 84D48170
	v_fma_f32 v113, v113, s64, -v53                            // 00000000EAB4: D1CB0071 84D48171
	v_fma_f32 v114, v114, s64, -v53                            // 00000000EABC: D1CB0072 84D48172
	v_fma_f32 v115, v115, s64, -v53                            // 00000000EAC4: D1CB0073 84D48173
	v_fma_f32 v116, v116, s64, -v53                            // 00000000EACC: D1CB0074 84D48174
	v_fma_f32 v117, v117, s64, -v53                            // 00000000EAD4: D1CB0075 84D48175
	v_fma_f32 v118, v118, s64, -v53                            // 00000000EADC: D1CB0076 84D48176
	v_fma_f32 v119, v119, s64, -v53                            // 00000000EAE4: D1CB0077 84D48177
	v_fma_f32 v120, v120, s64, -v53                            // 00000000EAEC: D1CB0078 84D48178
	v_fma_f32 v121, v121, s64, -v53                            // 00000000EAF4: D1CB0079 84D48179
	v_fma_f32 v122, v122, s64, -v53                            // 00000000EAFC: D1CB007A 84D4817A
	v_fma_f32 v123, v123, s64, -v53                            // 00000000EB04: D1CB007B 84D4817B
	v_fma_f32 v124, v124, s64, -v53                            // 00000000EB0C: D1CB007C 84D4817C
	v_fma_f32 v125, v125, s64, -v53                            // 00000000EB14: D1CB007D 84D4817D
	v_fma_f32 v126, v126, s64, -v53                            // 00000000EB1C: D1CB007E 84D4817E
	v_fma_f32 v127, v127, s64, -v53                            // 00000000EB24: D1CB007F 84D4817F
	v_exp_f32_e32 v112, v112                                   // 00000000EB2C: 7EE04170
	v_exp_f32_e32 v113, v113                                   // 00000000EB30: 7EE24171
	v_exp_f32_e32 v114, v114                                   // 00000000EB34: 7EE44172
	v_exp_f32_e32 v115, v115                                   // 00000000EB38: 7EE64173
	v_exp_f32_e32 v116, v116                                   // 00000000EB3C: 7EE84174
	v_exp_f32_e32 v117, v117                                   // 00000000EB40: 7EEA4175
	v_exp_f32_e32 v118, v118                                   // 00000000EB44: 7EEC4176
	v_exp_f32_e32 v119, v119                                   // 00000000EB48: 7EEE4177
	v_exp_f32_e32 v120, v120                                   // 00000000EB4C: 7EF04178
	v_exp_f32_e32 v121, v121                                   // 00000000EB50: 7EF24179
	v_exp_f32_e32 v122, v122                                   // 00000000EB54: 7EF4417A
	v_exp_f32_e32 v123, v123                                   // 00000000EB58: 7EF6417B
	v_exp_f32_e32 v124, v124                                   // 00000000EB5C: 7EF8417C
	v_exp_f32_e32 v125, v125                                   // 00000000EB60: 7EFA417D
	v_exp_f32_e32 v126, v126                                   // 00000000EB64: 7EFC417E
	v_exp_f32_e32 v127, v127                                   // 00000000EB68: 7EFE417F
	v_mul_f32_dpp v240, v252, v112 quad_perm:[0,0,0,0] row_mask:0xf bank_mask:0xf// 00000000EB6C: 0BE0E0FA FF0000FC
	v_mul_f32_dpp v241, v252, v113 quad_perm:[1,1,1,1] row_mask:0xf bank_mask:0xf// 00000000EB74: 0BE2E2FA FF0055FC
	v_mul_f32_dpp v242, v252, v114 quad_perm:[2,2,2,2] row_mask:0xf bank_mask:0xf// 00000000EB7C: 0BE4E4FA FF00AAFC
	v_mul_f32_dpp v243, v252, v115 quad_perm:[3,3,3,3] row_mask:0xf bank_mask:0xf// 00000000EB84: 0BE6E6FA FF00FFFC
	v_mul_f32_dpp v244, v253, v116 quad_perm:[0,0,0,0] row_mask:0xf bank_mask:0xf// 00000000EB8C: 0BE8E8FA FF0000FD
	v_mul_f32_dpp v245, v253, v117 quad_perm:[1,1,1,1] row_mask:0xf bank_mask:0xf// 00000000EB94: 0BEAEAFA FF0055FD
	v_mul_f32_dpp v246, v253, v118 quad_perm:[2,2,2,2] row_mask:0xf bank_mask:0xf// 00000000EB9C: 0BECECFA FF00AAFD
	v_mul_f32_dpp v247, v253, v119 quad_perm:[3,3,3,3] row_mask:0xf bank_mask:0xf// 00000000EBA4: 0BEEEEFA FF00FFFD
	v_mul_f32_dpp v248, v254, v120 quad_perm:[0,0,0,0] row_mask:0xf bank_mask:0xf// 00000000EBAC: 0BF0F0FA FF0000FE
	v_mul_f32_dpp v249, v254, v121 quad_perm:[1,1,1,1] row_mask:0xf bank_mask:0xf// 00000000EBB4: 0BF2F2FA FF0055FE
	v_mul_f32_dpp v250, v254, v122 quad_perm:[2,2,2,2] row_mask:0xf bank_mask:0xf// 00000000EBBC: 0BF4F4FA FF00AAFE
	v_mul_f32_dpp v251, v254, v123 quad_perm:[3,3,3,3] row_mask:0xf bank_mask:0xf// 00000000EBC4: 0BF6F6FA FF00FFFE
	v_mul_f32_dpp v252, v255, v124 quad_perm:[0,0,0,0] row_mask:0xf bank_mask:0xf// 00000000EBCC: 0BF8F8FA FF0000FF
	v_mul_f32_dpp v253, v255, v125 quad_perm:[1,1,1,1] row_mask:0xf bank_mask:0xf// 00000000EBD4: 0BFAFAFA FF0055FF
	v_mul_f32_dpp v254, v255, v126 quad_perm:[2,2,2,2] row_mask:0xf bank_mask:0xf// 00000000EBDC: 0BFCFCFA FF00AAFF
	v_mul_f32_dpp v255, v255, v127 quad_perm:[3,3,3,3] row_mask:0xf bank_mask:0xf// 00000000EBE4: 0BFEFEFA FF00FFFF
	v_mov_b32_e32 v48, 0x358637bd                              // 00000000EBEC: 7E6002FF 358637BD
	v_max3_f32 v48, |v240|, |v241|, v48                        // 00000000EBF4: D1D30330 04C3E3F0
	v_max3_f32 v48, |v242|, |v243|, v48                        // 00000000EBFC: D1D30330 04C3E7F2
	v_max3_f32 v48, |v244|, |v245|, v48                        // 00000000EC04: D1D30330 04C3EBF4
	v_max3_f32 v48, |v246|, |v247|, v48                        // 00000000EC0C: D1D30330 04C3EFF6
	v_max3_f32 v48, |v248|, |v249|, v48                        // 00000000EC14: D1D30330 04C3F3F8
	v_max3_f32 v48, |v250|, |v251|, v48                        // 00000000EC1C: D1D30330 04C3F7FA
	v_max3_f32 v48, |v252|, |v253|, v48                        // 00000000EC24: D1D30330 04C3FBFC
	v_max3_f32 v48, |v254|, |v255|, v48                        // 00000000EC2C: D1D30330 04C3FFFE
	ds_write_b32 v8, v48 offset:20992                          // 00000000EC34: D81A5200 00003008
	v_sub_f32_e32 v49, v11, v15                                // 00000000EC3C: 04621F0B
	v_cndmask_b32_e64 v49, v49, 0, s[40:41]                    // 00000000EC40: D1000031 00A10131
	v_mov_b32_e32 v11, v15                                     // 00000000EC48: 7E16030F
	v_mul_f32_e32 v49, s64, v49                                // 00000000EC4C: 0A626240
	v_exp_f32_e32 v49, v49                                     // 00000000EC50: 7E624131
	s_waitcnt lgkmcnt(0)                                       // 00000000EC54: BF8CC07F
	s_barrier                                                  // 00000000EC58: BF8A0000
	ds_read_b32 v64, v7 offset:20992                           // 00000000EC5C: D86C5200 40000007
	ds_read_b32 v65, v7 offset:21056                           // 00000000EC64: D86C5240 41000007
	ds_read_b32 v66, v7 offset:21120                           // 00000000EC6C: D86C5280 42000007
	ds_read_b32 v67, v7 offset:21184                           // 00000000EC74: D86C52C0 43000007
	ds_read_b32 v68, v7 offset:21248                           // 00000000EC7C: D86C5300 44000007
	ds_read_b32 v69, v7 offset:21312                           // 00000000EC84: D86C5340 45000007
	ds_read_b32 v70, v7 offset:21376                           // 00000000EC8C: D86C5380 46000007
	ds_read_b32 v71, v7 offset:21440                           // 00000000EC94: D86C53C0 47000007
	ds_read_b32 v72, v7 offset:21504                           // 00000000EC9C: D86C5400 48000007
	ds_read_b32 v73, v7 offset:21568                           // 00000000ECA4: D86C5440 49000007
	ds_read_b32 v74, v7 offset:21632                           // 00000000ECAC: D86C5480 4A000007
	ds_read_b32 v75, v7 offset:21696                           // 00000000ECB4: D86C54C0 4B000007
	ds_read_b32 v76, v7 offset:21760                           // 00000000ECBC: D86C5500 4C000007
	ds_read_b32 v77, v7 offset:21824                           // 00000000ECC4: D86C5540 4D000007
	ds_read_b32 v78, v7 offset:21888                           // 00000000ECCC: D86C5580 4E000007
	ds_read_b32 v79, v7 offset:21952                           // 00000000ECD4: D86C55C0 4F000007
	v_mul_f32_e32 v38, v49, v38                                // 00000000ECDC: 0A4C4D31
	v_mov_b32_e32 v15, v112                                    // 00000000ECE0: 7E1E0370
	v_add_f32_e32 v15, v113, v15                               // 00000000ECE4: 021E1F71
	v_add_f32_e32 v15, v114, v15                               // 00000000ECE8: 021E1F72
	v_add_f32_e32 v15, v115, v15                               // 00000000ECEC: 021E1F73
	v_add_f32_e32 v15, v116, v15                               // 00000000ECF0: 021E1F74
	v_add_f32_e32 v15, v117, v15                               // 00000000ECF4: 021E1F75
	v_add_f32_e32 v15, v118, v15                               // 00000000ECF8: 021E1F76
	v_add_f32_e32 v15, v119, v15                               // 00000000ECFC: 021E1F77
	v_add_f32_e32 v15, v120, v15                               // 00000000ED00: 021E1F78
	v_add_f32_e32 v15, v121, v15                               // 00000000ED04: 021E1F79
	v_add_f32_e32 v15, v122, v15                               // 00000000ED08: 021E1F7A
	v_add_f32_e32 v15, v123, v15                               // 00000000ED0C: 021E1F7B
	v_add_f32_e32 v15, v124, v15                               // 00000000ED10: 021E1F7C
	v_add_f32_e32 v15, v125, v15                               // 00000000ED14: 021E1F7D
	v_add_f32_e32 v15, v126, v15                               // 00000000ED18: 021E1F7E
	v_add_f32_e32 v15, v127, v15                               // 00000000ED1C: 021E1F7F
	v_add_f32_e32 v38, v15, v38                                // 00000000ED20: 024C4D0F
	s_waitcnt lgkmcnt(0)                                       // 00000000ED24: BF8CC07F
	v_max3_f32 v48, |v64|, |v65|, v48                          // 00000000ED28: D1D30330 04C28340
	v_max3_f32 v48, |v66|, |v67|, v48                          // 00000000ED30: D1D30330 04C28742
	v_max3_f32 v48, |v68|, |v69|, v48                          // 00000000ED38: D1D30330 04C28B44
	v_max3_f32 v48, |v70|, |v71|, v48                          // 00000000ED40: D1D30330 04C28F46
	v_max3_f32 v48, |v72|, |v73|, v48                          // 00000000ED48: D1D30330 04C29348
	v_max3_f32 v48, |v74|, |v75|, v48                          // 00000000ED50: D1D30330 04C2974A
	v_max3_f32 v48, |v76|, |v77|, v48                          // 00000000ED58: D1D30330 04C29B4C
	v_max3_f32 v48, |v78|, |v79|, v48                          // 00000000ED60: D1D30330 04C29F4E
	s_nop 2                                                    // 00000000ED68: BF800002
	v_rcp_f32_e32 v48, v48                                     // 00000000ED6C: 7E604530
	s_nop 1                                                    // 00000000ED70: BF800001
	v_mul_f32_e32 v48, 0x43e00000, v48                         // 00000000ED74: 0A6060FF 43E00000
	v_mul_f32_e32 v112, v48, v240                              // 00000000ED7C: 0AE1E130
	v_mul_f32_e32 v113, v48, v241                              // 00000000ED80: 0AE3E330
	v_mul_f32_e32 v114, v48, v242                              // 00000000ED84: 0AE5E530
	v_mul_f32_e32 v115, v48, v243                              // 00000000ED88: 0AE7E730
	v_mul_f32_e32 v116, v48, v244                              // 00000000ED8C: 0AE9E930
	v_mul_f32_e32 v117, v48, v245                              // 00000000ED90: 0AEBEB30
	v_mul_f32_e32 v118, v48, v246                              // 00000000ED94: 0AEDED30
	v_mul_f32_e32 v119, v48, v247                              // 00000000ED98: 0AEFEF30
	v_mul_f32_e32 v120, v48, v248                              // 00000000ED9C: 0AF1F130
	v_mul_f32_e32 v121, v48, v249                              // 00000000EDA0: 0AF3F330
	v_mul_f32_e32 v122, v48, v250                              // 00000000EDA4: 0AF5F530
	v_mul_f32_e32 v123, v48, v251                              // 00000000EDA8: 0AF7F730
	v_mul_f32_e32 v124, v48, v252                              // 00000000EDAC: 0AF9F930
	v_mul_f32_e32 v125, v48, v253                              // 00000000EDB0: 0AFBFB30
	v_mul_f32_e32 v126, v48, v254                              // 00000000EDB4: 0AFDFD30
	v_mul_f32_e32 v127, v48, v255                              // 00000000EDB8: 0AFFFF30
	v_cvt_pk_fp8_f32 v112, v112, v113                          // 00000000EDBC: D2A20070 0002E370
	v_cvt_pk_fp8_f32 v112, v114, v115 op_sel:[0,0,1]           // 00000000EDC4: D2A24070 0002E772
	v_cvt_pk_fp8_f32 v113, v116, v117                          // 00000000EDCC: D2A20071 0002EB74
	v_cvt_pk_fp8_f32 v113, v118, v119 op_sel:[0,0,1]           // 00000000EDD4: D2A24071 0002EF76
	v_cvt_pk_fp8_f32 v114, v120, v121                          // 00000000EDDC: D2A20072 0002F378
	v_cvt_pk_fp8_f32 v114, v122, v123 op_sel:[0,0,1]           // 00000000EDE4: D2A24072 0002F77A
	v_cvt_pk_fp8_f32 v115, v124, v125                          // 00000000EDEC: D2A20073 0002FB7C
	v_cvt_pk_fp8_f32 v115, v126, v127 op_sel:[0,0,1]           // 00000000EDF4: D2A24073 0002FF7E
	ds_write_b32 v10, v112 offset:25088                        // 00000000EDFC: D81A6200 0000700A
	ds_write_b32 v10, v113 offset:26112                        // 00000000EE04: D81A6600 0000710A
	ds_write_b32 v10, v114 offset:27136                        // 00000000EE0C: D81A6A00 0000720A
	ds_write_b32 v10, v115 offset:28160                        // 00000000EE14: D81A6E00 0000730A
	v_add_f32_e32 v208, v208, v176                             // 00000000EE1C: 03A161D0
	v_add_f32_e32 v209, v209, v177                             // 00000000EE20: 03A363D1
	v_add_f32_e32 v210, v210, v178                             // 00000000EE24: 03A565D2
	v_add_f32_e32 v211, v211, v179                             // 00000000EE28: 03A767D3
	v_add_f32_e32 v212, v212, v180                             // 00000000EE2C: 03A969D4
	v_add_f32_e32 v213, v213, v181                             // 00000000EE30: 03AB6BD5
	v_add_f32_e32 v214, v214, v182                             // 00000000EE34: 03AD6DD6
	v_add_f32_e32 v215, v215, v183                             // 00000000EE38: 03AF6FD7
	v_rcp_f32_e32 v44, v48                                     // 00000000EE3C: 7E584530
	s_waitcnt lgkmcnt(0)                                       // 00000000EE40: BF8CC07F
	s_barrier                                                  // 00000000EE44: BF8A0000
	ds_read_b64 v[112:113], v9 offset:25088                    // 00000000EE48: D8EC6200 70000009
	ds_read_b64 v[114:115], v9 offset:25216                    // 00000000EE50: D8EC6280 72000009
	ds_read_b64 v[116:117], v9 offset:26112                    // 00000000EE58: D8EC6600 74000009
	ds_read_b64 v[118:119], v9 offset:26240                    // 00000000EE60: D8EC6680 76000009
	ds_read_b64 v[120:121], v9 offset:27136                    // 00000000EE68: D8EC6A00 78000009
	ds_read_b64 v[122:123], v9 offset:27264                    // 00000000EE70: D8EC6A80 7A000009
	ds_read_b64 v[124:125], v9 offset:28160                    // 00000000EE78: D8EC6E00 7C000009
	ds_read_b64 v[126:127], v9 offset:28288                    // 00000000EE80: D8EC6E80 7E000009
	v_mov_b32_dpp v64, v43 row_shr:4 row_mask:0xf bank_mask:0xf// 00000000EE88: 7E8002FA FF01142B
	v_mov_b32_dpp v65, v43 row_shl:4 row_mask:0xf bank_mask:0xf// 00000000EE90: 7E8202FA FF01042B
	v_cndmask_b32_e64 v248, v43, v64, s[44:45]                 // 00000000EE98: D10000F8 00B2812B
	v_cndmask_b32_e64 v249, v65, v43, s[44:45]                 // 00000000EEA0: D10000F9 00B25741
	v_mov_b32_dpp v64, v248 row_shr:8 row_mask:0xf bank_mask:0xf// 00000000EEA8: 7E8002FA FF0118F8
	v_mov_b32_dpp v65, v248 row_shl:8 row_mask:0xf bank_mask:0xf// 00000000EEB0: 7E8202FA FF0108F8
	v_mov_b32_dpp v66, v249 row_shr:8 row_mask:0xf bank_mask:0xf// 00000000EEB8: 7E8402FA FF0118F9
	v_mov_b32_dpp v67, v249 row_shl:8 row_mask:0xf bank_mask:0xf// 00000000EEC0: 7E8602FA FF0108F9
	v_mov_b32_e32 v68, v248                                    // 00000000EEC8: 7E8803F8
	v_mov_b32_e32 v69, v249                                    // 00000000EECC: 7E8A03F9
	v_cndmask_b32_e64 v248, v68, v64, s[42:43]                 // 00000000EED0: D10000F8 00AA8144
	v_cndmask_b32_e64 v250, v68, v65, s[78:79]                 // 00000000EED8: D10000FA 013A8344
	v_cndmask_b32_e64 v249, v69, v66, s[42:43]                 // 00000000EEE0: D10000F9 00AA8545
	v_cndmask_b32_e64 v251, v69, v67, s[78:79]                 // 00000000EEE8: D10000FB 013A8745
	v_mov_b32_dpp v64, v58 row_shr:4 row_mask:0xf bank_mask:0xf// 00000000EEF0: 7E8002FA FF01143A
	v_mov_b32_dpp v65, v58 row_shl:4 row_mask:0xf bank_mask:0xf// 00000000EEF8: 7E8202FA FF01043A
	v_cndmask_b32_e64 v252, v58, v64, s[44:45]                 // 00000000EF00: D10000FC 00B2813A
	v_cndmask_b32_e64 v253, v65, v58, s[44:45]                 // 00000000EF08: D10000FD 00B27541
	v_mov_b32_dpp v64, v252 row_shr:8 row_mask:0xf bank_mask:0xf// 00000000EF10: 7E8002FA FF0118FC
	v_mov_b32_dpp v65, v252 row_shl:8 row_mask:0xf bank_mask:0xf// 00000000EF18: 7E8202FA FF0108FC
	v_mov_b32_dpp v66, v253 row_shr:8 row_mask:0xf bank_mask:0xf// 00000000EF20: 7E8402FA FF0118FD
	v_mov_b32_dpp v67, v253 row_shl:8 row_mask:0xf bank_mask:0xf// 00000000EF28: 7E8602FA FF0108FD
	v_mov_b32_e32 v68, v252                                    // 00000000EF30: 7E8803FC
	v_mov_b32_e32 v69, v253                                    // 00000000EF34: 7E8A03FD
	v_cndmask_b32_e64 v252, v68, v64, s[42:43]                 // 00000000EF38: D10000FC 00AA8144
	v_cndmask_b32_e64 v254, v68, v65, s[78:79]                 // 00000000EF40: D10000FE 013A8344
	v_cndmask_b32_e64 v253, v69, v66, s[42:43]                 // 00000000EF48: D10000FD 00AA8545
	v_cndmask_b32_e64 v255, v69, v67, s[78:79]                 // 00000000EF50: D10000FF 013A8745
	v_mul_f32_e32 v128, v19, v128                              // 00000000EF58: 0B010113
	v_mul_f32_e32 v129, v19, v129                              // 00000000EF5C: 0B030313
	v_mul_f32_e32 v130, v19, v130                              // 00000000EF60: 0B050513
	v_mul_f32_e32 v131, v19, v131                              // 00000000EF64: 0B070713
	v_mul_f32_e32 v132, v19, v132                              // 00000000EF68: 0B090913
	v_mul_f32_e32 v133, v19, v133                              // 00000000EF6C: 0B0B0B13
	v_mul_f32_e32 v134, v19, v134                              // 00000000EF70: 0B0D0D13
	v_mul_f32_e32 v135, v19, v135                              // 00000000EF74: 0B0F0F13
	v_mul_f32_e32 v136, v19, v136                              // 00000000EF78: 0B111113
	v_mul_f32_e32 v137, v19, v137                              // 00000000EF7C: 0B131313
	v_mul_f32_e32 v138, v19, v138                              // 00000000EF80: 0B151513
	v_mul_f32_e32 v139, v19, v139                              // 00000000EF84: 0B171713
	v_mul_f32_e32 v140, v19, v140                              // 00000000EF88: 0B191913
	v_mul_f32_e32 v141, v19, v141                              // 00000000EF8C: 0B1B1B13
	v_mul_f32_e32 v142, v19, v142                              // 00000000EF90: 0B1D1D13
	v_mul_f32_e32 v143, v19, v143                              // 00000000EF94: 0B1F1F13
	v_mul_f32_dpp v128, v248, v128 quad_perm:[0,0,0,0] row_mask:0xf bank_mask:0xf// 00000000EF98: 0B0100FA FF0000F8
	v_mul_f32_dpp v129, v248, v129 quad_perm:[1,1,1,1] row_mask:0xf bank_mask:0xf// 00000000EFA0: 0B0302FA FF0055F8
	v_mul_f32_dpp v130, v248, v130 quad_perm:[2,2,2,2] row_mask:0xf bank_mask:0xf// 00000000EFA8: 0B0504FA FF00AAF8
	v_mul_f32_dpp v131, v248, v131 quad_perm:[3,3,3,3] row_mask:0xf bank_mask:0xf// 00000000EFB0: 0B0706FA FF00FFF8
	v_mul_f32_dpp v132, v249, v132 quad_perm:[0,0,0,0] row_mask:0xf bank_mask:0xf// 00000000EFB8: 0B0908FA FF0000F9
	v_mul_f32_dpp v133, v249, v133 quad_perm:[1,1,1,1] row_mask:0xf bank_mask:0xf// 00000000EFC0: 0B0B0AFA FF0055F9
	v_mul_f32_dpp v134, v249, v134 quad_perm:[2,2,2,2] row_mask:0xf bank_mask:0xf// 00000000EFC8: 0B0D0CFA FF00AAF9
	v_mul_f32_dpp v135, v249, v135 quad_perm:[3,3,3,3] row_mask:0xf bank_mask:0xf// 00000000EFD0: 0B0F0EFA FF00FFF9
	v_mul_f32_dpp v136, v250, v136 quad_perm:[0,0,0,0] row_mask:0xf bank_mask:0xf// 00000000EFD8: 0B1110FA FF0000FA
	v_mul_f32_dpp v137, v250, v137 quad_perm:[1,1,1,1] row_mask:0xf bank_mask:0xf// 00000000EFE0: 0B1312FA FF0055FA
	v_mul_f32_dpp v138, v250, v138 quad_perm:[2,2,2,2] row_mask:0xf bank_mask:0xf// 00000000EFE8: 0B1514FA FF00AAFA
	v_mul_f32_dpp v139, v250, v139 quad_perm:[3,3,3,3] row_mask:0xf bank_mask:0xf// 00000000EFF0: 0B1716FA FF00FFFA
	v_mul_f32_dpp v140, v251, v140 quad_perm:[0,0,0,0] row_mask:0xf bank_mask:0xf// 00000000EFF8: 0B1918FA FF0000FB
	v_mul_f32_dpp v141, v251, v141 quad_perm:[1,1,1,1] row_mask:0xf bank_mask:0xf// 00000000F000: 0B1B1AFA FF0055FB
	v_mul_f32_dpp v142, v251, v142 quad_perm:[2,2,2,2] row_mask:0xf bank_mask:0xf// 00000000F008: 0B1D1CFA FF00AAFB
	v_mul_f32_dpp v143, v251, v143 quad_perm:[3,3,3,3] row_mask:0xf bank_mask:0xf// 00000000F010: 0B1F1EFA FF00FFFB
	s_cmp_le_i32 s90, s89                                      // 00000000F018: BF05595A
	s_cbranch_scc1 label_33F9                                  // 00000000F01C: BF850071
	v_mov_b32_e32 v66, 0xff800000                              // 00000000F020: 7E8402FF FF800000
	s_mov_b32 s60, s90                                         // 00000000F028: BEBC005A
	s_add_u32 s61, s89, 0xff                                   // 00000000F02C: 803DFF59 000000FF
	v_mov_b32_e32 v64, s61                                     // 00000000F034: 7E80023D
	v_lshrrev_b32_e32 v240, 4, v0                              // 00000000F038: 21E00084
	v_mul_i32_i24_e32 v240, 4, v240                            // 00000000F03C: 0DE1E084
	v_add_u32_e32 v240, s60, v240                              // 00000000F040: 69E1E03C
	s_mov_b32 s61, 1                                           // 00000000F044: BEBD0081
	s_mul_i32 s60, 16, s7                                      // 00000000F048: 923C0790
	v_sub_u32_e64 v240, v240, s61                              // 00000000F04C: D13500F0 00007BF0
	v_add_u32_e32 v240, s60, v240                              // 00000000F054: 69E1E03C
	v_add_u32_e32 v241, 1, v240                                // 00000000F058: 69E3E081
	v_add_u32_e32 v242, 2, v240                                // 00000000F05C: 69E5E082
	v_add_u32_e32 v243, 3, v240                                // 00000000F060: 69E7E083
	v_cmp_le_u32_e64 s[40:41], v240, v64                       // 00000000F064: D0CB0028 000281F0
	v_add_u32_e32 v240, 64, v240                               // 00000000F06C: 69E1E0C0
	s_nop 0                                                    // 00000000F070: BF800000
	v_cndmask_b32_e64 v128, v66, v128, s[40:41]                // 00000000F074: D1000080 00A30142
	v_cmp_le_u32_e64 s[40:41], v241, v64                       // 00000000F07C: D0CB0028 000281F1
	v_add_u32_e32 v241, 64, v241                               // 00000000F084: 69E3E2C0
	s_nop 0                                                    // 00000000F088: BF800000
	v_cndmask_b32_e64 v129, v66, v129, s[40:41]                // 00000000F08C: D1000081 00A30342
	v_cmp_le_u32_e64 s[40:41], v242, v64                       // 00000000F094: D0CB0028 000281F2
	v_add_u32_e32 v242, 64, v242                               // 00000000F09C: 69E5E4C0
	s_nop 0                                                    // 00000000F0A0: BF800000
	v_cndmask_b32_e64 v130, v66, v130, s[40:41]                // 00000000F0A4: D1000082 00A30542
	v_cmp_le_u32_e64 s[40:41], v243, v64                       // 00000000F0AC: D0CB0028 000281F3
	v_add_u32_e32 v243, 64, v243                               // 00000000F0B4: 69E7E6C0
	s_nop 0                                                    // 00000000F0B8: BF800000
	v_cndmask_b32_e64 v131, v66, v131, s[40:41]                // 00000000F0BC: D1000083 00A30742
	v_cmp_le_u32_e64 s[40:41], v240, v64                       // 00000000F0C4: D0CB0028 000281F0
	v_add_u32_e32 v240, 64, v240                               // 00000000F0CC: 69E1E0C0
	s_nop 0                                                    // 00000000F0D0: BF800000
	v_cndmask_b32_e64 v132, v66, v132, s[40:41]                // 00000000F0D4: D1000084 00A30942
	v_cmp_le_u32_e64 s[40:41], v241, v64                       // 00000000F0DC: D0CB0028 000281F1
	v_add_u32_e32 v241, 64, v241                               // 00000000F0E4: 69E3E2C0
	s_nop 0                                                    // 00000000F0E8: BF800000
	v_cndmask_b32_e64 v133, v66, v133, s[40:41]                // 00000000F0EC: D1000085 00A30B42
	v_cmp_le_u32_e64 s[40:41], v242, v64                       // 00000000F0F4: D0CB0028 000281F2
	v_add_u32_e32 v242, 64, v242                               // 00000000F0FC: 69E5E4C0
	s_nop 0                                                    // 00000000F100: BF800000
	v_cndmask_b32_e64 v134, v66, v134, s[40:41]                // 00000000F104: D1000086 00A30D42
	v_cmp_le_u32_e64 s[40:41], v243, v64                       // 00000000F10C: D0CB0028 000281F3
	v_add_u32_e32 v243, 64, v243                               // 00000000F114: 69E7E6C0
	s_nop 0                                                    // 00000000F118: BF800000
	v_cndmask_b32_e64 v135, v66, v135, s[40:41]                // 00000000F11C: D1000087 00A30F42
	v_cmp_le_u32_e64 s[40:41], v240, v64                       // 00000000F124: D0CB0028 000281F0
	v_add_u32_e32 v240, 64, v240                               // 00000000F12C: 69E1E0C0
	s_nop 0                                                    // 00000000F130: BF800000
	v_cndmask_b32_e64 v136, v66, v136, s[40:41]                // 00000000F134: D1000088 00A31142
	v_cmp_le_u32_e64 s[40:41], v241, v64                       // 00000000F13C: D0CB0028 000281F1
	v_add_u32_e32 v241, 64, v241                               // 00000000F144: 69E3E2C0
	s_nop 0                                                    // 00000000F148: BF800000
	v_cndmask_b32_e64 v137, v66, v137, s[40:41]                // 00000000F14C: D1000089 00A31342
	v_cmp_le_u32_e64 s[40:41], v242, v64                       // 00000000F154: D0CB0028 000281F2
	v_add_u32_e32 v242, 64, v242                               // 00000000F15C: 69E5E4C0
	s_nop 0                                                    // 00000000F160: BF800000
	v_cndmask_b32_e64 v138, v66, v138, s[40:41]                // 00000000F164: D100008A 00A31542
	v_cmp_le_u32_e64 s[40:41], v243, v64                       // 00000000F16C: D0CB0028 000281F3
	v_add_u32_e32 v243, 64, v243                               // 00000000F174: 69E7E6C0
	s_nop 0                                                    // 00000000F178: BF800000
	v_cndmask_b32_e64 v139, v66, v139, s[40:41]                // 00000000F17C: D100008B 00A31742
	v_cmp_le_u32_e64 s[40:41], v240, v64                       // 00000000F184: D0CB0028 000281F0
	v_add_u32_e32 v240, 64, v240                               // 00000000F18C: 69E1E0C0
	s_nop 0                                                    // 00000000F190: BF800000
	v_cndmask_b32_e64 v140, v66, v140, s[40:41]                // 00000000F194: D100008C 00A31942
	v_cmp_le_u32_e64 s[40:41], v241, v64                       // 00000000F19C: D0CB0028 000281F1
	v_add_u32_e32 v241, 64, v241                               // 00000000F1A4: 69E3E2C0
	s_nop 0                                                    // 00000000F1A8: BF800000
	v_cndmask_b32_e64 v141, v66, v141, s[40:41]                // 00000000F1AC: D100008D 00A31B42
	v_cmp_le_u32_e64 s[40:41], v242, v64                       // 00000000F1B4: D0CB0028 000281F2
	v_add_u32_e32 v242, 64, v242                               // 00000000F1BC: 69E5E4C0
	s_nop 0                                                    // 00000000F1C0: BF800000
	v_cndmask_b32_e64 v142, v66, v142, s[40:41]                // 00000000F1C4: D100008E 00A31D42
	v_cmp_le_u32_e64 s[40:41], v243, v64                       // 00000000F1CC: D0CB0028 000281F3
	v_add_u32_e32 v243, 64, v243                               // 00000000F1D4: 69E7E6C0
	s_nop 0                                                    // 00000000F1D8: BF800000
	v_cndmask_b32_e64 v143, v66, v143, s[40:41]                // 00000000F1DC: D100008F 00A31F42

000000000000f1e4 <label_33F9>:
	s_add_u32 s90, s91, s90                                    // 00000000F1E4: 805A5A5B
	s_and_b32 s60, s72, 0xff                                   // 00000000F1E8: 863CFF48 000000FF
	v_mov_b32_e32 v65, s60                                     // 00000000F1F0: 7E82023C
	v_lshrrev_b32_e32 v240, 4, v0                              // 00000000F1F4: 21E00084
	v_mul_i32_i24_e32 v240, 4, v240                            // 00000000F1F8: 0DE1E084
	s_mul_i32 s60, s7, 16                                      // 00000000F1FC: 923C9007
	v_add_u32_e32 v240, s60, v240                              // 00000000F200: 69E1E03C
	v_add_u32_e32 v241, 1, v240                                // 00000000F204: 69E3E081
	v_add_u32_e32 v242, 2, v240                                // 00000000F208: 69E5E082
	v_add_u32_e32 v243, 3, v240                                // 00000000F20C: 69E7E083
	v_mov_b32_e32 v64, 0xff800000                              // 00000000F210: 7E8002FF FF800000
	v_cmp_lt_u32_e64 s[40:41], v240, v65                       // 00000000F218: D0C90028 000283F0
	v_add_u32_e32 v240, 64, v240                               // 00000000F220: 69E1E0C0
	s_nop 0                                                    // 00000000F224: BF800000
	v_cndmask_b32_e64 v128, v64, v128, s[40:41]                // 00000000F228: D1000080 00A30140
	v_cmp_lt_u32_e64 s[40:41], v241, v65                       // 00000000F230: D0C90028 000283F1
	v_add_u32_e32 v241, 64, v241                               // 00000000F238: 69E3E2C0
	s_nop 0                                                    // 00000000F23C: BF800000
	v_cndmask_b32_e64 v129, v64, v129, s[40:41]                // 00000000F240: D1000081 00A30340
	v_cmp_lt_u32_e64 s[40:41], v242, v65                       // 00000000F248: D0C90028 000283F2
	v_add_u32_e32 v242, 64, v242                               // 00000000F250: 69E5E4C0
	s_nop 0                                                    // 00000000F254: BF800000
	v_cndmask_b32_e64 v130, v64, v130, s[40:41]                // 00000000F258: D1000082 00A30540
	v_cmp_lt_u32_e64 s[40:41], v243, v65                       // 00000000F260: D0C90028 000283F3
	v_add_u32_e32 v243, 64, v243                               // 00000000F268: 69E7E6C0
	s_nop 0                                                    // 00000000F26C: BF800000
	v_cndmask_b32_e64 v131, v64, v131, s[40:41]                // 00000000F270: D1000083 00A30740
	v_cmp_lt_u32_e64 s[40:41], v240, v65                       // 00000000F278: D0C90028 000283F0
	v_add_u32_e32 v240, 64, v240                               // 00000000F280: 69E1E0C0
	s_nop 0                                                    // 00000000F284: BF800000
	v_cndmask_b32_e64 v132, v64, v132, s[40:41]                // 00000000F288: D1000084 00A30940
	v_cmp_lt_u32_e64 s[40:41], v241, v65                       // 00000000F290: D0C90028 000283F1
	v_add_u32_e32 v241, 64, v241                               // 00000000F298: 69E3E2C0
	s_nop 0                                                    // 00000000F29C: BF800000
	v_cndmask_b32_e64 v133, v64, v133, s[40:41]                // 00000000F2A0: D1000085 00A30B40
	v_cmp_lt_u32_e64 s[40:41], v242, v65                       // 00000000F2A8: D0C90028 000283F2
	v_add_u32_e32 v242, 64, v242                               // 00000000F2B0: 69E5E4C0
	s_nop 0                                                    // 00000000F2B4: BF800000
	v_cndmask_b32_e64 v134, v64, v134, s[40:41]                // 00000000F2B8: D1000086 00A30D40
	v_cmp_lt_u32_e64 s[40:41], v243, v65                       // 00000000F2C0: D0C90028 000283F3
	v_add_u32_e32 v243, 64, v243                               // 00000000F2C8: 69E7E6C0
	s_nop 0                                                    // 00000000F2CC: BF800000
	v_cndmask_b32_e64 v135, v64, v135, s[40:41]                // 00000000F2D0: D1000087 00A30F40
	v_cmp_lt_u32_e64 s[40:41], v240, v65                       // 00000000F2D8: D0C90028 000283F0
	v_add_u32_e32 v240, 64, v240                               // 00000000F2E0: 69E1E0C0
	s_nop 0                                                    // 00000000F2E4: BF800000
	v_cndmask_b32_e64 v136, v64, v136, s[40:41]                // 00000000F2E8: D1000088 00A31140
	v_cmp_lt_u32_e64 s[40:41], v241, v65                       // 00000000F2F0: D0C90028 000283F1
	v_add_u32_e32 v241, 64, v241                               // 00000000F2F8: 69E3E2C0
	s_nop 0                                                    // 00000000F2FC: BF800000
	v_cndmask_b32_e64 v137, v64, v137, s[40:41]                // 00000000F300: D1000089 00A31340
	v_cmp_lt_u32_e64 s[40:41], v242, v65                       // 00000000F308: D0C90028 000283F2
	v_add_u32_e32 v242, 64, v242                               // 00000000F310: 69E5E4C0
	s_nop 0                                                    // 00000000F314: BF800000
	v_cndmask_b32_e64 v138, v64, v138, s[40:41]                // 00000000F318: D100008A 00A31540
	v_cmp_lt_u32_e64 s[40:41], v243, v65                       // 00000000F320: D0C90028 000283F3
	v_add_u32_e32 v243, 64, v243                               // 00000000F328: 69E7E6C0
	s_nop 0                                                    // 00000000F32C: BF800000
	v_cndmask_b32_e64 v139, v64, v139, s[40:41]                // 00000000F330: D100008B 00A31740
	v_cmp_lt_u32_e64 s[40:41], v240, v65                       // 00000000F338: D0C90028 000283F0
	v_add_u32_e32 v240, 64, v240                               // 00000000F340: 69E1E0C0
	s_nop 0                                                    // 00000000F344: BF800000
	v_cndmask_b32_e64 v140, v64, v140, s[40:41]                // 00000000F348: D100008C 00A31940
	v_cmp_lt_u32_e64 s[40:41], v241, v65                       // 00000000F350: D0C90028 000283F1
	v_add_u32_e32 v241, 64, v241                               // 00000000F358: 69E3E2C0
	s_nop 0                                                    // 00000000F35C: BF800000
	v_cndmask_b32_e64 v141, v64, v141, s[40:41]                // 00000000F360: D100008D 00A31B40
	v_cmp_lt_u32_e64 s[40:41], v242, v65                       // 00000000F368: D0C90028 000283F2
	v_add_u32_e32 v242, 64, v242                               // 00000000F370: 69E5E4C0
	s_nop 0                                                    // 00000000F374: BF800000
	v_cndmask_b32_e64 v142, v64, v142, s[40:41]                // 00000000F378: D100008E 00A31D40
	v_cmp_lt_u32_e64 s[40:41], v243, v65                       // 00000000F380: D0C90028 000283F3
	v_add_u32_e32 v243, 64, v243                               // 00000000F388: 69E7E6C0
	s_nop 0                                                    // 00000000F38C: BF800000
	v_cndmask_b32_e64 v143, v64, v143, s[40:41]                // 00000000F390: D100008F 00A31F40
	v_mov_b32_e32 v48, v128                                    // 00000000F398: 7E600380
	v_max3_f32 v48, v128, v129, v48                            // 00000000F39C: D1D30030 04C30380
	v_max3_f32 v48, v130, v131, v48                            // 00000000F3A4: D1D30030 04C30782
	v_max3_f32 v48, v132, v133, v48                            // 00000000F3AC: D1D30030 04C30B84
	v_max3_f32 v48, v134, v135, v48                            // 00000000F3B4: D1D30030 04C30F86
	v_max3_f32 v48, v136, v137, v48                            // 00000000F3BC: D1D30030 04C31388
	v_max3_f32 v48, v138, v139, v48                            // 00000000F3C4: D1D30030 04C3178A
	v_max3_f32 v48, v140, v141, v48                            // 00000000F3CC: D1D30030 04C31B8C
	v_max3_f32 v48, v142, v143, v48                            // 00000000F3D4: D1D30030 04C31F8E
	ds_write_b32 v8, v48 offset:16896                          // 00000000F3DC: D81A4200 00003008
	v_mul_f32_e32 v216, v50, v216                              // 00000000F3E4: 0BB1B132
	v_mul_f32_e32 v217, v50, v217                              // 00000000F3E8: 0BB3B332
	v_mul_f32_e32 v218, v50, v218                              // 00000000F3EC: 0BB5B532
	v_mul_f32_e32 v219, v50, v219                              // 00000000F3F0: 0BB7B732
	v_mul_f32_e32 v220, v50, v220                              // 00000000F3F4: 0BB9B932
	v_mul_f32_e32 v221, v50, v221                              // 00000000F3F8: 0BBBBB32
	v_mul_f32_e32 v222, v50, v222                              // 00000000F3FC: 0BBDBD32
	v_mul_f32_e32 v223, v50, v223                              // 00000000F400: 0BBFBF32
	s_waitcnt lgkmcnt(0)                                       // 00000000F404: BF8CC07F
	s_barrier                                                  // 00000000F408: BF8A0000
	ds_read_b32 v64, v7 offset:16896                           // 00000000F40C: D86C4200 40000007
	ds_read_b32 v65, v7 offset:16960                           // 00000000F414: D86C4240 41000007
	ds_read_b32 v66, v7 offset:17024                           // 00000000F41C: D86C4280 42000007
	ds_read_b32 v67, v7 offset:17088                           // 00000000F424: D86C42C0 43000007
	ds_read_b32 v68, v7 offset:17152                           // 00000000F42C: D86C4300 44000007
	ds_read_b32 v69, v7 offset:17216                           // 00000000F434: D86C4340 45000007
	ds_read_b32 v70, v7 offset:17280                           // 00000000F43C: D86C4380 46000007
	ds_read_b32 v71, v7 offset:17344                           // 00000000F444: D86C43C0 47000007
	ds_read_b32 v72, v7 offset:17408                           // 00000000F44C: D86C4400 48000007
	ds_read_b32 v73, v7 offset:17472                           // 00000000F454: D86C4440 49000007
	ds_read_b32 v74, v7 offset:17536                           // 00000000F45C: D86C4480 4A000007
	ds_read_b32 v75, v7 offset:17600                           // 00000000F464: D86C44C0 4B000007
	ds_read_b32 v76, v7 offset:17664                           // 00000000F46C: D86C4500 4C000007
	ds_read_b32 v77, v7 offset:17728                           // 00000000F474: D86C4540 4D000007
	ds_read_b32 v78, v7 offset:17792                           // 00000000F47C: D86C4580 4E000007
	ds_read_b32 v79, v7 offset:17856                           // 00000000F484: D86C45C0 4F000007
	v_mul_f32_e32 v184, v45, v184                              // 00000000F48C: 0B71712D
	v_mul_f32_e32 v185, v45, v185                              // 00000000F490: 0B73732D
	v_mul_f32_e32 v186, v45, v186                              // 00000000F494: 0B75752D
	v_mul_f32_e32 v187, v45, v187                              // 00000000F498: 0B77772D
	v_mul_f32_e32 v188, v45, v188                              // 00000000F49C: 0B79792D
	v_mul_f32_e32 v189, v45, v189                              // 00000000F4A0: 0B7B7B2D
	v_mul_f32_e32 v190, v45, v190                              // 00000000F4A4: 0B7D7D2D
	v_mul_f32_e32 v191, v45, v191                              // 00000000F4A8: 0B7F7F2D
	s_waitcnt lgkmcnt(0)                                       // 00000000F4AC: BF8CC07F
	v_max3_f32 v48, v64, v65, v48                              // 00000000F4B0: D1D30030 04C28340
	v_max3_f32 v48, v66, v67, v48                              // 00000000F4B8: D1D30030 04C28742
	v_max3_f32 v48, v68, v69, v48                              // 00000000F4C0: D1D30030 04C28B44
	v_max3_f32 v48, v70, v71, v48                              // 00000000F4C8: D1D30030 04C28F46
	v_max3_f32 v48, v72, v73, v48                              // 00000000F4D0: D1D30030 04C29348
	v_max3_f32 v48, v74, v75, v48                              // 00000000F4D8: D1D30030 04C2974A
	v_max3_f32 v48, v76, v77, v48                              // 00000000F4E0: D1D30030 04C29B4C
	v_max3_f32 v48, v78, v79, v48                              // 00000000F4E8: D1D30030 04C29F4E
	v_mov_b32_e32 v64, 0xff800000                              // 00000000F4F0: 7E8002FF FF800000
	v_cmp_eq_u32_e64 s[40:41], v64, v12                        // 00000000F4F8: D0CA0028 00021940
	s_nop 1                                                    // 00000000F500: BF800001
	v_max_f32_e32 v15, v48, v12                                // 00000000F504: 161E1930
	v_mul_f32_e32 v53, s64, v15                                // 00000000F508: 0A6A1E40
	v_fma_f32 v128, v128, s64, -v53                            // 00000000F50C: D1CB0080 84D48180
	v_fma_f32 v129, v129, s64, -v53                            // 00000000F514: D1CB0081 84D48181
	v_fma_f32 v130, v130, s64, -v53                            // 00000000F51C: D1CB0082 84D48182
	v_fma_f32 v131, v131, s64, -v53                            // 00000000F524: D1CB0083 84D48183
	v_fma_f32 v132, v132, s64, -v53                            // 00000000F52C: D1CB0084 84D48184
	v_fma_f32 v133, v133, s64, -v53                            // 00000000F534: D1CB0085 84D48185
	v_fma_f32 v134, v134, s64, -v53                            // 00000000F53C: D1CB0086 84D48186
	v_fma_f32 v135, v135, s64, -v53                            // 00000000F544: D1CB0087 84D48187
	v_fma_f32 v136, v136, s64, -v53                            // 00000000F54C: D1CB0088 84D48188
	v_fma_f32 v137, v137, s64, -v53                            // 00000000F554: D1CB0089 84D48189
	v_fma_f32 v138, v138, s64, -v53                            // 00000000F55C: D1CB008A 84D4818A
	v_fma_f32 v139, v139, s64, -v53                            // 00000000F564: D1CB008B 84D4818B
	v_fma_f32 v140, v140, s64, -v53                            // 00000000F56C: D1CB008C 84D4818C
	v_fma_f32 v141, v141, s64, -v53                            // 00000000F574: D1CB008D 84D4818D
	v_fma_f32 v142, v142, s64, -v53                            // 00000000F57C: D1CB008E 84D4818E
	v_fma_f32 v143, v143, s64, -v53                            // 00000000F584: D1CB008F 84D4818F
	v_exp_f32_e32 v128, v128                                   // 00000000F58C: 7F004180
	v_exp_f32_e32 v129, v129                                   // 00000000F590: 7F024181
	v_exp_f32_e32 v130, v130                                   // 00000000F594: 7F044182
	v_exp_f32_e32 v131, v131                                   // 00000000F598: 7F064183
	v_exp_f32_e32 v132, v132                                   // 00000000F59C: 7F084184
	v_exp_f32_e32 v133, v133                                   // 00000000F5A0: 7F0A4185
	v_exp_f32_e32 v134, v134                                   // 00000000F5A4: 7F0C4186
	v_exp_f32_e32 v135, v135                                   // 00000000F5A8: 7F0E4187
	v_exp_f32_e32 v136, v136                                   // 00000000F5AC: 7F104188
	v_exp_f32_e32 v137, v137                                   // 00000000F5B0: 7F124189
	v_exp_f32_e32 v138, v138                                   // 00000000F5B4: 7F14418A
	v_exp_f32_e32 v139, v139                                   // 00000000F5B8: 7F16418B
	v_exp_f32_e32 v140, v140                                   // 00000000F5BC: 7F18418C
	v_exp_f32_e32 v141, v141                                   // 00000000F5C0: 7F1A418D
	v_exp_f32_e32 v142, v142                                   // 00000000F5C4: 7F1C418E
	v_exp_f32_e32 v143, v143                                   // 00000000F5C8: 7F1E418F
	v_mul_f32_dpp v240, v252, v128 quad_perm:[0,0,0,0] row_mask:0xf bank_mask:0xf// 00000000F5CC: 0BE100FA FF0000FC
	v_mul_f32_dpp v241, v252, v129 quad_perm:[1,1,1,1] row_mask:0xf bank_mask:0xf// 00000000F5D4: 0BE302FA FF0055FC
	v_mul_f32_dpp v242, v252, v130 quad_perm:[2,2,2,2] row_mask:0xf bank_mask:0xf// 00000000F5DC: 0BE504FA FF00AAFC
	v_mul_f32_dpp v243, v252, v131 quad_perm:[3,3,3,3] row_mask:0xf bank_mask:0xf// 00000000F5E4: 0BE706FA FF00FFFC
	v_mul_f32_dpp v244, v253, v132 quad_perm:[0,0,0,0] row_mask:0xf bank_mask:0xf// 00000000F5EC: 0BE908FA FF0000FD
	v_mul_f32_dpp v245, v253, v133 quad_perm:[1,1,1,1] row_mask:0xf bank_mask:0xf// 00000000F5F4: 0BEB0AFA FF0055FD
	v_mul_f32_dpp v246, v253, v134 quad_perm:[2,2,2,2] row_mask:0xf bank_mask:0xf// 00000000F5FC: 0BED0CFA FF00AAFD
	v_mul_f32_dpp v247, v253, v135 quad_perm:[3,3,3,3] row_mask:0xf bank_mask:0xf// 00000000F604: 0BEF0EFA FF00FFFD
	v_mul_f32_dpp v248, v254, v136 quad_perm:[0,0,0,0] row_mask:0xf bank_mask:0xf// 00000000F60C: 0BF110FA FF0000FE
	v_mul_f32_dpp v249, v254, v137 quad_perm:[1,1,1,1] row_mask:0xf bank_mask:0xf// 00000000F614: 0BF312FA FF0055FE
	v_mul_f32_dpp v250, v254, v138 quad_perm:[2,2,2,2] row_mask:0xf bank_mask:0xf// 00000000F61C: 0BF514FA FF00AAFE
	v_mul_f32_dpp v251, v254, v139 quad_perm:[3,3,3,3] row_mask:0xf bank_mask:0xf// 00000000F624: 0BF716FA FF00FFFE
	v_mul_f32_dpp v252, v255, v140 quad_perm:[0,0,0,0] row_mask:0xf bank_mask:0xf// 00000000F62C: 0BF918FA FF0000FF
	v_mul_f32_dpp v253, v255, v141 quad_perm:[1,1,1,1] row_mask:0xf bank_mask:0xf// 00000000F634: 0BFB1AFA FF0055FF
	v_mul_f32_dpp v254, v255, v142 quad_perm:[2,2,2,2] row_mask:0xf bank_mask:0xf// 00000000F63C: 0BFD1CFA FF00AAFF
	v_mul_f32_dpp v255, v255, v143 quad_perm:[3,3,3,3] row_mask:0xf bank_mask:0xf// 00000000F644: 0BFF1EFA FF00FFFF
	v_mov_b32_e32 v48, 0x358637bd                              // 00000000F64C: 7E6002FF 358637BD
	v_max3_f32 v48, |v240|, |v241|, v48                        // 00000000F654: D1D30330 04C3E3F0
	v_max3_f32 v48, |v242|, |v243|, v48                        // 00000000F65C: D1D30330 04C3E7F2
	v_max3_f32 v48, |v244|, |v245|, v48                        // 00000000F664: D1D30330 04C3EBF4
	v_max3_f32 v48, |v246|, |v247|, v48                        // 00000000F66C: D1D30330 04C3EFF6
	v_max3_f32 v48, |v248|, |v249|, v48                        // 00000000F674: D1D30330 04C3F3F8
	v_max3_f32 v48, |v250|, |v251|, v48                        // 00000000F67C: D1D30330 04C3F7FA
	v_max3_f32 v48, |v252|, |v253|, v48                        // 00000000F684: D1D30330 04C3FBFC
	v_max3_f32 v48, |v254|, |v255|, v48                        // 00000000F68C: D1D30330 04C3FFFE
	ds_write_b32 v8, v48 offset:20992                          // 00000000F694: D81A5200 00003008
	v_sub_f32_e32 v50, v12, v15                                // 00000000F69C: 04641F0C
	v_cndmask_b32_e64 v50, v50, 0, s[40:41]                    // 00000000F6A0: D1000032 00A10132
	v_mov_b32_e32 v12, v15                                     // 00000000F6A8: 7E18030F
	v_mul_f32_e32 v50, s64, v50                                // 00000000F6AC: 0A646440
	v_exp_f32_e32 v50, v50                                     // 00000000F6B0: 7E644132
	s_waitcnt lgkmcnt(0)                                       // 00000000F6B4: BF8CC07F
	s_barrier                                                  // 00000000F6B8: BF8A0000
	ds_read_b32 v64, v7 offset:20992                           // 00000000F6BC: D86C5200 40000007
	ds_read_b32 v65, v7 offset:21056                           // 00000000F6C4: D86C5240 41000007
	ds_read_b32 v66, v7 offset:21120                           // 00000000F6CC: D86C5280 42000007
	ds_read_b32 v67, v7 offset:21184                           // 00000000F6D4: D86C52C0 43000007
	ds_read_b32 v68, v7 offset:21248                           // 00000000F6DC: D86C5300 44000007
	ds_read_b32 v69, v7 offset:21312                           // 00000000F6E4: D86C5340 45000007
	ds_read_b32 v70, v7 offset:21376                           // 00000000F6EC: D86C5380 46000007
	ds_read_b32 v71, v7 offset:21440                           // 00000000F6F4: D86C53C0 47000007
	ds_read_b32 v72, v7 offset:21504                           // 00000000F6FC: D86C5400 48000007
	ds_read_b32 v73, v7 offset:21568                           // 00000000F704: D86C5440 49000007
	ds_read_b32 v74, v7 offset:21632                           // 00000000F70C: D86C5480 4A000007
	ds_read_b32 v75, v7 offset:21696                           // 00000000F714: D86C54C0 4B000007
	ds_read_b32 v76, v7 offset:21760                           // 00000000F71C: D86C5500 4C000007
	ds_read_b32 v77, v7 offset:21824                           // 00000000F724: D86C5540 4D000007
	ds_read_b32 v78, v7 offset:21888                           // 00000000F72C: D86C5580 4E000007
	ds_read_b32 v79, v7 offset:21952                           // 00000000F734: D86C55C0 4F000007
	v_mul_f32_e32 v39, v50, v39                                // 00000000F73C: 0A4E4F32
	v_mov_b32_e32 v15, v128                                    // 00000000F740: 7E1E0380
	v_add_f32_e32 v15, v129, v15                               // 00000000F744: 021E1F81
	v_add_f32_e32 v15, v130, v15                               // 00000000F748: 021E1F82
	v_add_f32_e32 v15, v131, v15                               // 00000000F74C: 021E1F83
	v_add_f32_e32 v15, v132, v15                               // 00000000F750: 021E1F84
	v_add_f32_e32 v15, v133, v15                               // 00000000F754: 021E1F85
	v_add_f32_e32 v15, v134, v15                               // 00000000F758: 021E1F86
	v_add_f32_e32 v15, v135, v15                               // 00000000F75C: 021E1F87
	v_add_f32_e32 v15, v136, v15                               // 00000000F760: 021E1F88
	v_add_f32_e32 v15, v137, v15                               // 00000000F764: 021E1F89
	v_add_f32_e32 v15, v138, v15                               // 00000000F768: 021E1F8A
	v_add_f32_e32 v15, v139, v15                               // 00000000F76C: 021E1F8B
	v_add_f32_e32 v15, v140, v15                               // 00000000F770: 021E1F8C
	v_add_f32_e32 v15, v141, v15                               // 00000000F774: 021E1F8D
	v_add_f32_e32 v15, v142, v15                               // 00000000F778: 021E1F8E
	v_add_f32_e32 v15, v143, v15                               // 00000000F77C: 021E1F8F
	v_add_f32_e32 v39, v15, v39                                // 00000000F780: 024E4F0F
	s_waitcnt lgkmcnt(0)                                       // 00000000F784: BF8CC07F
	v_max3_f32 v48, |v64|, |v65|, v48                          // 00000000F788: D1D30330 04C28340
	v_max3_f32 v48, |v66|, |v67|, v48                          // 00000000F790: D1D30330 04C28742
	v_max3_f32 v48, |v68|, |v69|, v48                          // 00000000F798: D1D30330 04C28B44
	v_max3_f32 v48, |v70|, |v71|, v48                          // 00000000F7A0: D1D30330 04C28F46
	v_max3_f32 v48, |v72|, |v73|, v48                          // 00000000F7A8: D1D30330 04C29348
	v_max3_f32 v48, |v74|, |v75|, v48                          // 00000000F7B0: D1D30330 04C2974A
	v_max3_f32 v48, |v76|, |v77|, v48                          // 00000000F7B8: D1D30330 04C29B4C
	v_max3_f32 v48, |v78|, |v79|, v48                          // 00000000F7C0: D1D30330 04C29F4E
	s_nop 2                                                    // 00000000F7C8: BF800002
	v_rcp_f32_e32 v48, v48                                     // 00000000F7CC: 7E604530
	s_nop 1                                                    // 00000000F7D0: BF800001
	v_mul_f32_e32 v48, 0x43e00000, v48                         // 00000000F7D4: 0A6060FF 43E00000
	v_mul_f32_e32 v128, v48, v240                              // 00000000F7DC: 0B01E130
	v_mul_f32_e32 v129, v48, v241                              // 00000000F7E0: 0B03E330
	v_mul_f32_e32 v130, v48, v242                              // 00000000F7E4: 0B05E530
	v_mul_f32_e32 v131, v48, v243                              // 00000000F7E8: 0B07E730
	v_mul_f32_e32 v132, v48, v244                              // 00000000F7EC: 0B09E930
	v_mul_f32_e32 v133, v48, v245                              // 00000000F7F0: 0B0BEB30
	v_mul_f32_e32 v134, v48, v246                              // 00000000F7F4: 0B0DED30
	v_mul_f32_e32 v135, v48, v247                              // 00000000F7F8: 0B0FEF30
	v_mul_f32_e32 v136, v48, v248                              // 00000000F7FC: 0B11F130
	v_mul_f32_e32 v137, v48, v249                              // 00000000F800: 0B13F330
	v_mul_f32_e32 v138, v48, v250                              // 00000000F804: 0B15F530
	v_mul_f32_e32 v139, v48, v251                              // 00000000F808: 0B17F730
	v_mul_f32_e32 v140, v48, v252                              // 00000000F80C: 0B19F930
	v_mul_f32_e32 v141, v48, v253                              // 00000000F810: 0B1BFB30
	v_mul_f32_e32 v142, v48, v254                              // 00000000F814: 0B1DFD30
	v_mul_f32_e32 v143, v48, v255                              // 00000000F818: 0B1FFF30
	v_cvt_pk_fp8_f32 v128, v128, v129                          // 00000000F81C: D2A20080 00030380
	v_cvt_pk_fp8_f32 v128, v130, v131 op_sel:[0,0,1]           // 00000000F824: D2A24080 00030782
	v_cvt_pk_fp8_f32 v129, v132, v133                          // 00000000F82C: D2A20081 00030B84
	v_cvt_pk_fp8_f32 v129, v134, v135 op_sel:[0,0,1]           // 00000000F834: D2A24081 00030F86
	v_cvt_pk_fp8_f32 v130, v136, v137                          // 00000000F83C: D2A20082 00031388
	v_cvt_pk_fp8_f32 v130, v138, v139 op_sel:[0,0,1]           // 00000000F844: D2A24082 0003178A
	v_cvt_pk_fp8_f32 v131, v140, v141                          // 00000000F84C: D2A20083 00031B8C
	v_cvt_pk_fp8_f32 v131, v142, v143 op_sel:[0,0,1]           // 00000000F854: D2A24083 00031F8E
	ds_write_b32 v10, v128 offset:29184                        // 00000000F85C: D81A7200 0000800A
	ds_write_b32 v10, v129 offset:30208                        // 00000000F864: D81A7600 0000810A
	ds_write_b32 v10, v130 offset:31232                        // 00000000F86C: D81A7A00 0000820A
	ds_write_b32 v10, v131 offset:32256                        // 00000000F874: D81A7E00 0000830A
	v_add_f32_e32 v216, v216, v184                             // 00000000F87C: 03B171D8
	v_add_f32_e32 v217, v217, v185                             // 00000000F880: 03B373D9
	v_add_f32_e32 v218, v218, v186                             // 00000000F884: 03B575DA
	v_add_f32_e32 v219, v219, v187                             // 00000000F888: 03B777DB
	v_add_f32_e32 v220, v220, v188                             // 00000000F88C: 03B979DC
	v_add_f32_e32 v221, v221, v189                             // 00000000F890: 03BB7BDD
	v_add_f32_e32 v222, v222, v190                             // 00000000F894: 03BD7DDE
	v_add_f32_e32 v223, v223, v191                             // 00000000F898: 03BF7FDF
	v_rcp_f32_e32 v45, v48                                     // 00000000F89C: 7E5A4530
	s_waitcnt lgkmcnt(0)                                       // 00000000F8A0: BF8CC07F
	s_barrier                                                  // 00000000F8A4: BF8A0000
	ds_read_b64 v[128:129], v9 offset:29184                    // 00000000F8A8: D8EC7200 80000009
	ds_read_b64 v[130:131], v9 offset:29312                    // 00000000F8B0: D8EC7280 82000009
	ds_read_b64 v[132:133], v9 offset:30208                    // 00000000F8B8: D8EC7600 84000009
	ds_read_b64 v[134:135], v9 offset:30336                    // 00000000F8C0: D8EC7680 86000009
	ds_read_b64 v[136:137], v9 offset:31232                    // 00000000F8C8: D8EC7A00 88000009
	ds_read_b64 v[138:139], v9 offset:31360                    // 00000000F8D0: D8EC7A80 8A000009
	ds_read_b64 v[140:141], v9 offset:32256                    // 00000000F8D8: D8EC7E00 8C000009
	ds_read_b64 v[142:143], v9 offset:32384                    // 00000000F8E0: D8EC7E80 8E000009
	s_waitcnt vmcnt(0)                                         // 00000000F8E8: BF8C0F70
	s_barrier                                                  // 00000000F8EC: BF8A0000
	v_mfma_f32_16x16x32_fp8_fp8 v[176:179], a[96:97], v[112:113], 0// 00000000F8F0: D3F300B0 0A02E160
	v_mfma_f32_16x16x32_fp8_fp8 v[176:179], a[98:99], v[114:115], v[176:179]// 00000000F8F8: D3F300B0 0EC2E562
	v_mfma_f32_16x16x32_fp8_fp8 v[176:179], a[100:101], v[116:117], v[176:179]// 00000000F900: D3F300B0 0EC2E964
	v_mfma_f32_16x16x32_fp8_fp8 v[176:179], a[102:103], v[118:119], v[176:179]// 00000000F908: D3F300B0 0EC2ED66
	v_mfma_f32_16x16x32_fp8_fp8 v[176:179], a[104:105], v[120:121], v[176:179]// 00000000F910: D3F300B0 0EC2F168
	v_mfma_f32_16x16x32_fp8_fp8 v[176:179], a[106:107], v[122:123], v[176:179]// 00000000F918: D3F300B0 0EC2F56A
	v_mfma_f32_16x16x32_fp8_fp8 v[176:179], a[108:109], v[124:125], v[176:179]// 00000000F920: D3F300B0 0EC2F96C
	v_mfma_f32_16x16x32_fp8_fp8 v[176:179], a[110:111], v[126:127], v[176:179]// 00000000F928: D3F300B0 0EC2FD6E
	v_mfma_f32_16x16x32_fp8_fp8 v[180:183], a[112:113], v[112:113], 0// 00000000F930: D3F300B4 0A02E170
	v_mfma_f32_16x16x32_fp8_fp8 v[180:183], a[114:115], v[114:115], v[180:183]// 00000000F938: D3F300B4 0ED2E572
	v_mfma_f32_16x16x32_fp8_fp8 v[180:183], a[116:117], v[116:117], v[180:183]// 00000000F940: D3F300B4 0ED2E974
	v_mfma_f32_16x16x32_fp8_fp8 v[180:183], a[118:119], v[118:119], v[180:183]// 00000000F948: D3F300B4 0ED2ED76
	v_mfma_f32_16x16x32_fp8_fp8 v[180:183], a[120:121], v[120:121], v[180:183]// 00000000F950: D3F300B4 0ED2F178
	v_mfma_f32_16x16x32_fp8_fp8 v[180:183], a[122:123], v[122:123], v[180:183]// 00000000F958: D3F300B4 0ED2F57A
	v_mfma_f32_16x16x32_fp8_fp8 v[180:183], a[124:125], v[124:125], v[180:183]// 00000000F960: D3F300B4 0ED2F97C
	v_mfma_f32_16x16x32_fp8_fp8 v[180:183], a[126:127], v[126:127], v[180:183]// 00000000F968: D3F300B4 0ED2FD7E
	v_mfma_f32_16x16x32_fp8_fp8 v[184:187], a[96:97], v[128:129], 0// 00000000F970: D3F300B8 0A030160
	v_mfma_f32_16x16x32_fp8_fp8 v[184:187], a[98:99], v[130:131], v[184:187]// 00000000F978: D3F300B8 0EE30562
	v_mfma_f32_16x16x32_fp8_fp8 v[184:187], a[100:101], v[132:133], v[184:187]// 00000000F980: D3F300B8 0EE30964
	v_mfma_f32_16x16x32_fp8_fp8 v[184:187], a[102:103], v[134:135], v[184:187]// 00000000F988: D3F300B8 0EE30D66
	v_mfma_f32_16x16x32_fp8_fp8 v[184:187], a[104:105], v[136:137], v[184:187]// 00000000F990: D3F300B8 0EE31168
	v_mfma_f32_16x16x32_fp8_fp8 v[184:187], a[106:107], v[138:139], v[184:187]// 00000000F998: D3F300B8 0EE3156A
	v_mfma_f32_16x16x32_fp8_fp8 v[184:187], a[108:109], v[140:141], v[184:187]// 00000000F9A0: D3F300B8 0EE3196C
	v_mfma_f32_16x16x32_fp8_fp8 v[184:187], a[110:111], v[142:143], v[184:187]// 00000000F9A8: D3F300B8 0EE31D6E
	v_mfma_f32_16x16x32_fp8_fp8 v[188:191], a[112:113], v[128:129], 0// 00000000F9B0: D3F300BC 0A030170
	v_mfma_f32_16x16x32_fp8_fp8 v[188:191], a[114:115], v[130:131], v[188:191]// 00000000F9B8: D3F300BC 0EF30572
	v_mfma_f32_16x16x32_fp8_fp8 v[188:191], a[116:117], v[132:133], v[188:191]// 00000000F9C0: D3F300BC 0EF30974
	v_mfma_f32_16x16x32_fp8_fp8 v[188:191], a[118:119], v[134:135], v[188:191]// 00000000F9C8: D3F300BC 0EF30D76
	v_mfma_f32_16x16x32_fp8_fp8 v[188:191], a[120:121], v[136:137], v[188:191]// 00000000F9D0: D3F300BC 0EF31178
	v_mfma_f32_16x16x32_fp8_fp8 v[188:191], a[122:123], v[138:139], v[188:191]// 00000000F9D8: D3F300BC 0EF3157A
	v_mfma_f32_16x16x32_fp8_fp8 v[188:191], a[124:125], v[140:141], v[188:191]// 00000000F9E0: D3F300BC 0EF3197C
	v_mfma_f32_16x16x32_fp8_fp8 v[188:191], a[126:127], v[142:143], v[188:191]// 00000000F9E8: D3F300BC 0EF31D7E
	s_nop 4                                                    // 00000000F9F0: BF800004
	s_branch label_35FE                                        // 00000000F9F4: BF820000

000000000000f9f8 <label_35FE>:
	v_mul_f32_e32 v208, v49, v208                              // 00000000F9F8: 0BA1A131
	v_mul_f32_e32 v209, v49, v209                              // 00000000F9FC: 0BA3A331
	v_mul_f32_e32 v210, v49, v210                              // 00000000FA00: 0BA5A531
	v_mul_f32_e32 v211, v49, v211                              // 00000000FA04: 0BA7A731
	v_mul_f32_e32 v212, v49, v212                              // 00000000FA08: 0BA9A931
	v_mul_f32_e32 v213, v49, v213                              // 00000000FA0C: 0BABAB31
	v_mul_f32_e32 v214, v49, v214                              // 00000000FA10: 0BADAD31
	v_mul_f32_e32 v215, v49, v215                              // 00000000FA14: 0BAFAF31
	v_mul_f32_e32 v176, v44, v176                              // 00000000FA18: 0B61612C
	v_mul_f32_e32 v177, v44, v177                              // 00000000FA1C: 0B63632C
	v_mul_f32_e32 v178, v44, v178                              // 00000000FA20: 0B65652C
	v_mul_f32_e32 v179, v44, v179                              // 00000000FA24: 0B67672C
	v_mul_f32_e32 v180, v44, v180                              // 00000000FA28: 0B69692C
	v_mul_f32_e32 v181, v44, v181                              // 00000000FA2C: 0B6B6B2C
	v_mul_f32_e32 v182, v44, v182                              // 00000000FA30: 0B6D6D2C
	v_mul_f32_e32 v183, v44, v183                              // 00000000FA34: 0B6F6F2C
	v_add_f32_e32 v208, v208, v176                             // 00000000FA38: 03A161D0
	v_add_f32_e32 v209, v209, v177                             // 00000000FA3C: 03A363D1
	v_add_f32_e32 v210, v210, v178                             // 00000000FA40: 03A565D2
	v_add_f32_e32 v211, v211, v179                             // 00000000FA44: 03A767D3
	v_add_f32_e32 v212, v212, v180                             // 00000000FA48: 03A969D4
	v_add_f32_e32 v213, v213, v181                             // 00000000FA4C: 03AB6BD5
	v_add_f32_e32 v214, v214, v182                             // 00000000FA50: 03AD6DD6
	v_add_f32_e32 v215, v215, v183                             // 00000000FA54: 03AF6FD7
	ds_write_b32 v8, v38 offset:16896                          // 00000000FA58: D81A4200 00002608
	s_waitcnt lgkmcnt(0)                                       // 00000000FA60: BF8CC07F
	s_barrier                                                  // 00000000FA64: BF8A0000
	ds_read_b32 v64, v7 offset:16896                           // 00000000FA68: D86C4200 40000007
	ds_read_b32 v65, v7 offset:16960                           // 00000000FA70: D86C4240 41000007
	ds_read_b32 v66, v7 offset:17024                           // 00000000FA78: D86C4280 42000007
	ds_read_b32 v67, v7 offset:17088                           // 00000000FA80: D86C42C0 43000007
	ds_read_b32 v68, v7 offset:17152                           // 00000000FA88: D86C4300 44000007
	ds_read_b32 v69, v7 offset:17216                           // 00000000FA90: D86C4340 45000007
	ds_read_b32 v70, v7 offset:17280                           // 00000000FA98: D86C4380 46000007
	ds_read_b32 v71, v7 offset:17344                           // 00000000FAA0: D86C43C0 47000007
	ds_read_b32 v72, v7 offset:17408                           // 00000000FAA8: D86C4400 48000007
	ds_read_b32 v73, v7 offset:17472                           // 00000000FAB0: D86C4440 49000007
	ds_read_b32 v74, v7 offset:17536                           // 00000000FAB8: D86C4480 4A000007
	ds_read_b32 v75, v7 offset:17600                           // 00000000FAC0: D86C44C0 4B000007
	ds_read_b32 v76, v7 offset:17664                           // 00000000FAC8: D86C4500 4C000007
	ds_read_b32 v77, v7 offset:17728                           // 00000000FAD0: D86C4540 4D000007
	ds_read_b32 v78, v7 offset:17792                           // 00000000FAD8: D86C4580 4E000007
	ds_read_b32 v79, v7 offset:17856                           // 00000000FAE0: D86C45C0 4F000007
	s_waitcnt lgkmcnt(0)                                       // 00000000FAE8: BF8CC07F
	v_mov_b32_e32 v38, 0                                       // 00000000FAEC: 7E4C0280
	v_add_f32_e32 v38, v64, v38                                // 00000000FAF0: 024C4D40
	v_add_f32_e32 v38, v65, v38                                // 00000000FAF4: 024C4D41
	v_add_f32_e32 v38, v66, v38                                // 00000000FAF8: 024C4D42
	v_add_f32_e32 v38, v67, v38                                // 00000000FAFC: 024C4D43
	v_add_f32_e32 v38, v68, v38                                // 00000000FB00: 024C4D44
	v_add_f32_e32 v38, v69, v38                                // 00000000FB04: 024C4D45
	v_add_f32_e32 v38, v70, v38                                // 00000000FB08: 024C4D46
	v_add_f32_e32 v38, v71, v38                                // 00000000FB0C: 024C4D47
	v_add_f32_e32 v38, v72, v38                                // 00000000FB10: 024C4D48
	v_add_f32_e32 v38, v73, v38                                // 00000000FB14: 024C4D49
	v_add_f32_e32 v38, v74, v38                                // 00000000FB18: 024C4D4A
	v_add_f32_e32 v38, v75, v38                                // 00000000FB1C: 024C4D4B
	v_add_f32_e32 v38, v76, v38                                // 00000000FB20: 024C4D4C
	v_add_f32_e32 v38, v77, v38                                // 00000000FB24: 024C4D4D
	v_add_f32_e32 v38, v78, v38                                // 00000000FB28: 024C4D4E
	v_add_f32_e32 v38, v79, v38                                // 00000000FB2C: 024C4D4F
	s_nop 1                                                    // 00000000FB30: BF800001
	v_rcp_f32_e32 v38, v38                                     // 00000000FB34: 7E4C4526
	s_nop 1                                                    // 00000000FB38: BF800001
	v_mul_f32_e32 v208, v38, v208                              // 00000000FB3C: 0BA1A126
	v_mul_f32_e32 v209, v38, v209                              // 00000000FB40: 0BA3A326
	v_mul_f32_e32 v210, v38, v210                              // 00000000FB44: 0BA5A526
	v_mul_f32_e32 v211, v38, v211                              // 00000000FB48: 0BA7A726
	v_mul_f32_e32 v212, v38, v212                              // 00000000FB4C: 0BA9A926
	v_mul_f32_e32 v213, v38, v213                              // 00000000FB50: 0BABAB26
	v_mul_f32_e32 v214, v38, v214                              // 00000000FB54: 0BADAD26
	v_mul_f32_e32 v215, v38, v215                              // 00000000FB58: 0BAFAF26
	v_mov_b32_e32 v19, 0xffff0000                              // 00000000FB5C: 7E2602FF FFFF0000
	v_mov_b32_e32 v20, 0x7fff0000                              // 00000000FB64: 7E2802FF 7FFF0000
	v_mov_b32_e32 v21, 0x7fff                                  // 00000000FB6C: 7E2A02FF 00007FFF
	v_cmp_u_f32_e64 s[40:41], v208, v208                       // 00000000FB74: D0480028 0003A1D0
	v_add3_u32 v18, v208, v21, 1                               // 00000000FB7C: D1FF0012 02062BD0
	v_cndmask_b32_e64 v64, v18, v20, s[40:41]                  // 00000000FB84: D1000040 00A22912
	v_cmp_u_f32_e64 s[40:41], v209, v209                       // 00000000FB8C: D0480028 0003A3D1
	v_add3_u32 v18, v209, v21, 1                               // 00000000FB94: D1FF0012 02062BD1
	v_cndmask_b32_e64 v65, v18, v20, s[40:41]                  // 00000000FB9C: D1000041 00A22912
	v_perm_b32 v208, v65, v64, s52                             // 00000000FBA4: D1ED00D0 00D28141
	v_cmp_u_f32_e64 s[40:41], v210, v210                       // 00000000FBAC: D0480028 0003A5D2
	v_add3_u32 v18, v210, v21, 1                               // 00000000FBB4: D1FF0012 02062BD2
	v_cndmask_b32_e64 v64, v18, v20, s[40:41]                  // 00000000FBBC: D1000040 00A22912
	v_cmp_u_f32_e64 s[40:41], v211, v211                       // 00000000FBC4: D0480028 0003A7D3
	v_add3_u32 v18, v211, v21, 1                               // 00000000FBCC: D1FF0012 02062BD3
	v_cndmask_b32_e64 v65, v18, v20, s[40:41]                  // 00000000FBD4: D1000041 00A22912
	v_perm_b32 v209, v65, v64, s52                             // 00000000FBDC: D1ED00D1 00D28141
	v_cmp_u_f32_e64 s[40:41], v212, v212                       // 00000000FBE4: D0480028 0003A9D4
	v_add3_u32 v18, v212, v21, 1                               // 00000000FBEC: D1FF0012 02062BD4
	v_cndmask_b32_e64 v64, v18, v20, s[40:41]                  // 00000000FBF4: D1000040 00A22912
	v_cmp_u_f32_e64 s[40:41], v213, v213                       // 00000000FBFC: D0480028 0003ABD5
	v_add3_u32 v18, v213, v21, 1                               // 00000000FC04: D1FF0012 02062BD5
	v_cndmask_b32_e64 v65, v18, v20, s[40:41]                  // 00000000FC0C: D1000041 00A22912
	v_perm_b32 v210, v65, v64, s52                             // 00000000FC14: D1ED00D2 00D28141
	v_cmp_u_f32_e64 s[40:41], v214, v214                       // 00000000FC1C: D0480028 0003ADD6
	v_add3_u32 v18, v214, v21, 1                               // 00000000FC24: D1FF0012 02062BD6
	v_cndmask_b32_e64 v64, v18, v20, s[40:41]                  // 00000000FC2C: D1000040 00A22912
	v_cmp_u_f32_e64 s[40:41], v215, v215                       // 00000000FC34: D0480028 0003AFD7
	v_add3_u32 v18, v215, v21, 1                               // 00000000FC3C: D1FF0012 02062BD7
	v_cndmask_b32_e64 v65, v18, v20, s[40:41]                  // 00000000FC44: D1000041 00A22912
	v_perm_b32 v211, v65, v64, s52                             // 00000000FC4C: D1ED00D3 00D28141
	s_nop 1                                                    // 00000000FC54: BF800001
	v_lshrrev_b32_e32 v64, 4, v0                               // 00000000FC58: 20800084
	v_mul_i32_i24_e32 v68, 34, v64                             // 00000000FC5C: 0C8880A2
	v_and_b32_e32 v64, 15, v0                                  // 00000000FC60: 2680008F
	v_mul_i32_i24_e32 v65, 2, v64                              // 00000000FC64: 0C828082
	v_add_u32_e32 v68, v65, v68                                // 00000000FC68: 68888941
	s_mul_i32 s60, s7, 0x88                                    // 00000000FC6C: 923CFF07 00000088
	v_add_u32_e32 v68, s60, v68                                // 00000000FC74: 6888883C
	v_lshlrev_b32_e32 v68, 2, v68                              // 00000000FC78: 24888882
	ds_write_b64 v68, v[208:209] offset:41472                  // 00000000FC7C: D89AA200 0000D044
	ds_write_b64 v68, v[210:211] offset:43648                  // 00000000FC84: D89AAA80 0000D244
	v_lshrrev_b32_e32 v64, 1, v0                               // 00000000FC8C: 20800081
	v_mul_i32_i24_e32 v68, 34, v64                             // 00000000FC90: 0C8880A2
	v_and_b32_e32 v65, 1, v0                                   // 00000000FC94: 26820081
	v_add_u32_e32 v68, v65, v68                                // 00000000FC98: 68888941
	s_mul_i32 s60, s7, 2                                       // 00000000FC9C: 923C8207
	v_add_u32_e32 v68, s60, v68                                // 00000000FCA0: 6888883C
	v_lshlrev_b32_e32 v68, 2, v68                              // 00000000FCA4: 24888882
	s_waitcnt lgkmcnt(0)                                       // 00000000FCA8: BF8CC07F
	s_barrier                                                  // 00000000FCAC: BF8A0000
	ds_read_b32 v208, v68 offset:41472                         // 00000000FCB0: D86CA200 D0000044
	ds_read_b32 v209, v68 offset:41504                         // 00000000FCB8: D86CA220 D1000044
	ds_read_b32 v210, v68 offset:41536                         // 00000000FCC0: D86CA240 D2000044
	ds_read_b32 v211, v68 offset:41568                         // 00000000FCC8: D86CA260 D3000044
	s_mul_i32 s60, s7, 0x100                                   // 00000000FCD0: 923CFF07 00000100
	v_lshlrev_b32_e32 v64, 2, v0                               // 00000000FCD8: 24800082
	v_add_u32_e64 v64, v64, s60                                // 00000000FCDC: D1340040 00007940
	s_waitcnt lgkmcnt(0)                                       // 00000000FCE4: BF8CC07F
	buffer_store_dword v208, v64, s[8:11], 0 offen             // 00000000FCE8: E0701000 8002D040
	buffer_store_dword v209, v64, s[8:11], 0 offen offset:1024 // 00000000FCF0: E0701400 8002D140
	buffer_store_dword v210, v64, s[8:11], 0 offen offset:2048 // 00000000FCF8: E0701800 8002D240
	buffer_store_dword v211, v64, s[8:11], 0 offen offset:3072 // 00000000FD00: E0701C00 8002D340
	s_add_u32 s8, s75, s8                                      // 00000000FD08: 8008084B
	s_addc_u32 s9, 0, s9                                       // 00000000FD0C: 82090980
	v_mul_f32_e32 v216, v50, v216                              // 00000000FD10: 0BB1B132
	v_mul_f32_e32 v217, v50, v217                              // 00000000FD14: 0BB3B332
	v_mul_f32_e32 v218, v50, v218                              // 00000000FD18: 0BB5B532
	v_mul_f32_e32 v219, v50, v219                              // 00000000FD1C: 0BB7B732
	v_mul_f32_e32 v220, v50, v220                              // 00000000FD20: 0BB9B932
	v_mul_f32_e32 v221, v50, v221                              // 00000000FD24: 0BBBBB32
	v_mul_f32_e32 v222, v50, v222                              // 00000000FD28: 0BBDBD32
	v_mul_f32_e32 v223, v50, v223                              // 00000000FD2C: 0BBFBF32
	v_mul_f32_e32 v184, v45, v184                              // 00000000FD30: 0B71712D
	v_mul_f32_e32 v185, v45, v185                              // 00000000FD34: 0B73732D
	v_mul_f32_e32 v186, v45, v186                              // 00000000FD38: 0B75752D
	v_mul_f32_e32 v187, v45, v187                              // 00000000FD3C: 0B77772D
	v_mul_f32_e32 v188, v45, v188                              // 00000000FD40: 0B79792D
	v_mul_f32_e32 v189, v45, v189                              // 00000000FD44: 0B7B7B2D
	v_mul_f32_e32 v190, v45, v190                              // 00000000FD48: 0B7D7D2D
	v_mul_f32_e32 v191, v45, v191                              // 00000000FD4C: 0B7F7F2D
	v_add_f32_e32 v216, v216, v184                             // 00000000FD50: 03B171D8
	v_add_f32_e32 v217, v217, v185                             // 00000000FD54: 03B373D9
	v_add_f32_e32 v218, v218, v186                             // 00000000FD58: 03B575DA
	v_add_f32_e32 v219, v219, v187                             // 00000000FD5C: 03B777DB
	v_add_f32_e32 v220, v220, v188                             // 00000000FD60: 03B979DC
	v_add_f32_e32 v221, v221, v189                             // 00000000FD64: 03BB7BDD
	v_add_f32_e32 v222, v222, v190                             // 00000000FD68: 03BD7DDE
	v_add_f32_e32 v223, v223, v191                             // 00000000FD6C: 03BF7FDF
	ds_write_b32 v8, v39 offset:16896                          // 00000000FD70: D81A4200 00002708
	s_waitcnt lgkmcnt(0)                                       // 00000000FD78: BF8CC07F
	s_barrier                                                  // 00000000FD7C: BF8A0000
	ds_read_b32 v64, v7 offset:16896                           // 00000000FD80: D86C4200 40000007
	ds_read_b32 v65, v7 offset:16960                           // 00000000FD88: D86C4240 41000007
	ds_read_b32 v66, v7 offset:17024                           // 00000000FD90: D86C4280 42000007
	ds_read_b32 v67, v7 offset:17088                           // 00000000FD98: D86C42C0 43000007
	ds_read_b32 v68, v7 offset:17152                           // 00000000FDA0: D86C4300 44000007
	ds_read_b32 v69, v7 offset:17216                           // 00000000FDA8: D86C4340 45000007
	ds_read_b32 v70, v7 offset:17280                           // 00000000FDB0: D86C4380 46000007
	ds_read_b32 v71, v7 offset:17344                           // 00000000FDB8: D86C43C0 47000007
	ds_read_b32 v72, v7 offset:17408                           // 00000000FDC0: D86C4400 48000007
	ds_read_b32 v73, v7 offset:17472                           // 00000000FDC8: D86C4440 49000007
	ds_read_b32 v74, v7 offset:17536                           // 00000000FDD0: D86C4480 4A000007
	ds_read_b32 v75, v7 offset:17600                           // 00000000FDD8: D86C44C0 4B000007
	ds_read_b32 v76, v7 offset:17664                           // 00000000FDE0: D86C4500 4C000007
	ds_read_b32 v77, v7 offset:17728                           // 00000000FDE8: D86C4540 4D000007
	ds_read_b32 v78, v7 offset:17792                           // 00000000FDF0: D86C4580 4E000007
	ds_read_b32 v79, v7 offset:17856                           // 00000000FDF8: D86C45C0 4F000007
	s_waitcnt lgkmcnt(0)                                       // 00000000FE00: BF8CC07F
	v_mov_b32_e32 v39, 0                                       // 00000000FE04: 7E4E0280
	v_add_f32_e32 v39, v64, v39                                // 00000000FE08: 024E4F40
	v_add_f32_e32 v39, v65, v39                                // 00000000FE0C: 024E4F41
	v_add_f32_e32 v39, v66, v39                                // 00000000FE10: 024E4F42
	v_add_f32_e32 v39, v67, v39                                // 00000000FE14: 024E4F43
	v_add_f32_e32 v39, v68, v39                                // 00000000FE18: 024E4F44
	v_add_f32_e32 v39, v69, v39                                // 00000000FE1C: 024E4F45
	v_add_f32_e32 v39, v70, v39                                // 00000000FE20: 024E4F46
	v_add_f32_e32 v39, v71, v39                                // 00000000FE24: 024E4F47
	v_add_f32_e32 v39, v72, v39                                // 00000000FE28: 024E4F48
	v_add_f32_e32 v39, v73, v39                                // 00000000FE2C: 024E4F49
	v_add_f32_e32 v39, v74, v39                                // 00000000FE30: 024E4F4A
	v_add_f32_e32 v39, v75, v39                                // 00000000FE34: 024E4F4B
	v_add_f32_e32 v39, v76, v39                                // 00000000FE38: 024E4F4C
	v_add_f32_e32 v39, v77, v39                                // 00000000FE3C: 024E4F4D
	v_add_f32_e32 v39, v78, v39                                // 00000000FE40: 024E4F4E
	v_add_f32_e32 v39, v79, v39                                // 00000000FE44: 024E4F4F
	s_nop 1                                                    // 00000000FE48: BF800001
	v_rcp_f32_e32 v39, v39                                     // 00000000FE4C: 7E4E4527
	s_nop 1                                                    // 00000000FE50: BF800001
	v_mul_f32_e32 v216, v39, v216                              // 00000000FE54: 0BB1B127
	v_mul_f32_e32 v217, v39, v217                              // 00000000FE58: 0BB3B327
	v_mul_f32_e32 v218, v39, v218                              // 00000000FE5C: 0BB5B527
	v_mul_f32_e32 v219, v39, v219                              // 00000000FE60: 0BB7B727
	v_mul_f32_e32 v220, v39, v220                              // 00000000FE64: 0BB9B927
	v_mul_f32_e32 v221, v39, v221                              // 00000000FE68: 0BBBBB27
	v_mul_f32_e32 v222, v39, v222                              // 00000000FE6C: 0BBDBD27
	v_mul_f32_e32 v223, v39, v223                              // 00000000FE70: 0BBFBF27
	v_mov_b32_e32 v19, 0xffff0000                              // 00000000FE74: 7E2602FF FFFF0000
	v_mov_b32_e32 v20, 0x7fff0000                              // 00000000FE7C: 7E2802FF 7FFF0000
	v_mov_b32_e32 v21, 0x7fff                                  // 00000000FE84: 7E2A02FF 00007FFF
	v_cmp_u_f32_e64 s[40:41], v216, v216                       // 00000000FE8C: D0480028 0003B1D8
	v_add3_u32 v18, v216, v21, 1                               // 00000000FE94: D1FF0012 02062BD8
	v_cndmask_b32_e64 v64, v18, v20, s[40:41]                  // 00000000FE9C: D1000040 00A22912
	v_cmp_u_f32_e64 s[40:41], v217, v217                       // 00000000FEA4: D0480028 0003B3D9
	v_add3_u32 v18, v217, v21, 1                               // 00000000FEAC: D1FF0012 02062BD9
	v_cndmask_b32_e64 v65, v18, v20, s[40:41]                  // 00000000FEB4: D1000041 00A22912
	v_perm_b32 v216, v65, v64, s52                             // 00000000FEBC: D1ED00D8 00D28141
	v_cmp_u_f32_e64 s[40:41], v218, v218                       // 00000000FEC4: D0480028 0003B5DA
	v_add3_u32 v18, v218, v21, 1                               // 00000000FECC: D1FF0012 02062BDA
	v_cndmask_b32_e64 v64, v18, v20, s[40:41]                  // 00000000FED4: D1000040 00A22912
	v_cmp_u_f32_e64 s[40:41], v219, v219                       // 00000000FEDC: D0480028 0003B7DB
	v_add3_u32 v18, v219, v21, 1                               // 00000000FEE4: D1FF0012 02062BDB
	v_cndmask_b32_e64 v65, v18, v20, s[40:41]                  // 00000000FEEC: D1000041 00A22912
	v_perm_b32 v217, v65, v64, s52                             // 00000000FEF4: D1ED00D9 00D28141
	v_cmp_u_f32_e64 s[40:41], v220, v220                       // 00000000FEFC: D0480028 0003B9DC
	v_add3_u32 v18, v220, v21, 1                               // 00000000FF04: D1FF0012 02062BDC
	v_cndmask_b32_e64 v64, v18, v20, s[40:41]                  // 00000000FF0C: D1000040 00A22912
	v_cmp_u_f32_e64 s[40:41], v221, v221                       // 00000000FF14: D0480028 0003BBDD
	v_add3_u32 v18, v221, v21, 1                               // 00000000FF1C: D1FF0012 02062BDD
	v_cndmask_b32_e64 v65, v18, v20, s[40:41]                  // 00000000FF24: D1000041 00A22912
	v_perm_b32 v218, v65, v64, s52                             // 00000000FF2C: D1ED00DA 00D28141
	v_cmp_u_f32_e64 s[40:41], v222, v222                       // 00000000FF34: D0480028 0003BDDE
	v_add3_u32 v18, v222, v21, 1                               // 00000000FF3C: D1FF0012 02062BDE
	v_cndmask_b32_e64 v64, v18, v20, s[40:41]                  // 00000000FF44: D1000040 00A22912
	v_cmp_u_f32_e64 s[40:41], v223, v223                       // 00000000FF4C: D0480028 0003BFDF
	v_add3_u32 v18, v223, v21, 1                               // 00000000FF54: D1FF0012 02062BDF
	v_cndmask_b32_e64 v65, v18, v20, s[40:41]                  // 00000000FF5C: D1000041 00A22912
	v_perm_b32 v219, v65, v64, s52                             // 00000000FF64: D1ED00DB 00D28141
	s_nop 1                                                    // 00000000FF6C: BF800001
	v_lshrrev_b32_e32 v64, 4, v0                               // 00000000FF70: 20800084
	v_mul_i32_i24_e32 v68, 34, v64                             // 00000000FF74: 0C8880A2
	v_and_b32_e32 v64, 15, v0                                  // 00000000FF78: 2680008F
	v_mul_i32_i24_e32 v65, 2, v64                              // 00000000FF7C: 0C828082
	v_add_u32_e32 v68, v65, v68                                // 00000000FF80: 68888941
	s_mul_i32 s60, s7, 0x88                                    // 00000000FF84: 923CFF07 00000088
	v_add_u32_e32 v68, s60, v68                                // 00000000FF8C: 6888883C
	v_lshlrev_b32_e32 v68, 2, v68                              // 00000000FF90: 24888882
	ds_write_b64 v68, v[216:217] offset:41472                  // 00000000FF94: D89AA200 0000D844
	ds_write_b64 v68, v[218:219] offset:43648                  // 00000000FF9C: D89AAA80 0000DA44
	v_lshrrev_b32_e32 v64, 1, v0                               // 00000000FFA4: 20800081
	v_mul_i32_i24_e32 v68, 34, v64                             // 00000000FFA8: 0C8880A2
	v_and_b32_e32 v65, 1, v0                                   // 00000000FFAC: 26820081
	v_add_u32_e32 v68, v65, v68                                // 00000000FFB0: 68888941
	s_mul_i32 s60, s7, 2                                       // 00000000FFB4: 923C8207
	v_add_u32_e32 v68, s60, v68                                // 00000000FFB8: 6888883C
	v_lshlrev_b32_e32 v68, 2, v68                              // 00000000FFBC: 24888882
	s_waitcnt lgkmcnt(0)                                       // 00000000FFC0: BF8CC07F
	s_barrier                                                  // 00000000FFC4: BF8A0000
	ds_read_b32 v216, v68 offset:41472                         // 00000000FFC8: D86CA200 D8000044
	ds_read_b32 v217, v68 offset:41504                         // 00000000FFD0: D86CA220 D9000044
	ds_read_b32 v218, v68 offset:41536                         // 00000000FFD8: D86CA240 DA000044
	ds_read_b32 v219, v68 offset:41568                         // 00000000FFE0: D86CA260 DB000044
	s_mul_i32 s60, s7, 0x100                                   // 00000000FFE8: 923CFF07 00000100
	v_lshlrev_b32_e32 v64, 2, v0                               // 00000000FFF0: 24800082
	v_add_u32_e64 v64, v64, s60                                // 00000000FFF4: D1340040 00007940
	s_waitcnt lgkmcnt(0)                                       // 00000000FFFC: BF8CC07F
	buffer_store_dword v216, v64, s[8:11], 0 offen             // 000000010000: E0701000 8002D840
	buffer_store_dword v217, v64, s[8:11], 0 offen offset:1024 // 000000010008: E0701400 8002D940
	buffer_store_dword v218, v64, s[8:11], 0 offen offset:2048 // 000000010010: E0701800 8002DA40
	buffer_store_dword v219, v64, s[8:11], 0 offen offset:3072 // 000000010018: E0701C00 8002DB40
	s_add_u32 s8, s75, s8                                      // 000000010020: 8008084B
	s_addc_u32 s9, 0, s9                                       // 000000010024: 82090980

0000000000010028 <label_378A>:
	s_branch label_6C10                                        // 000000010028: BF823485

000000000001002c <label_378B>:
	s_mul_i32 s60, s3, s65                                     // 00000001002C: 923C4103
	s_mul_i32 s60, s60, 4                                      // 000000010030: 923C843C
	s_add_u32 s24, s60, s24                                    // 000000010034: 8018183C
	s_addc_u32 s25, 0, s25                                     // 000000010038: 82191980
	s_mov_b32 s56, 64                                          // 00000001003C: BEB800C0
	s_add_u32 s73, s72, 15                                     // 000000010040: 80498F48
	s_lshr_b32 s73, s73, 4                                     // 000000010044: 8F498449
	s_mul_i32 s60, s73, 4                                      // 000000010048: 923C8449
	s_mov_b32 s26, s60                                         // 00000001004C: BE9A003C
	s_sub_u32 s89, s72, s86                                    // 000000010050: 80D95648
	s_mov_b32 s90, 0xff                                        // 000000010054: BEDA00FF 000000FF
	s_mov_b32 s91, 0x100                                       // 00000001005C: BEDB00FF 00000100
	v_and_b32_e32 v65, 3, v0                                   // 000000010064: 26820083
	v_cmp_eq_u32_e64 s[60:61], 0, v65                          // 000000010068: D0CA003C 00028280
	v_and_b32_e32 v64, 12, v0                                  // 000000010070: 2680008C
	v_add_u32_e32 v1, s7, v64                                  // 000000010074: 68028007
	v_cndmask_b32_e64 v1, 0, v1, s[60:61]                      // 000000010078: D1000001 00F20280
	v_and_b32_e32 v65, 3, v0                                   // 000000010080: 26820083
	v_cmp_eq_u32_e64 s[60:61], 1, v65                          // 000000010084: D0CA003C 00028281
	v_lshrrev_b32_e32 v64, 4, v0                               // 00000001008C: 20800084
	v_and_b32_e32 v65, 12, v0                                  // 000000010090: 2682008C
	v_add_u32_e32 v64, v65, v64                                // 000000010094: 68808141
	v_cndmask_b32_e64 v64, 0, v64, s[60:61]                    // 000000010098: D1000040 00F28080
	v_add_u32_e32 v1, v1, v64                                  // 0000000100A0: 68028101
	v_lshlrev_b32_e32 v1, 2, v1                                // 0000000100A4: 24020282
	buffer_load_dword v16, v1, s[24:27], 0 offen               // 0000000100A8: E0501000 80061001
	v_add_u32_e32 v1, s56, v1                                  // 0000000100B0: 68020238
	buffer_load_dword v17, v1, s[24:27], 0 offen               // 0000000100B4: E0501000 80061101
	s_cmp_le_u32 s73, 32                                       // 0000000100BC: BF0BA049
	s_cselect_b32 s56, 0, s56                                  // 0000000100C0: 85383880
	s_mul_i32 s60, s2, s67                                     // 0000000100C4: 923C4302
	s_mul_i32 s61, s84, s74                                    // 0000000100C8: 923D4A54
	s_add_u32 s60, s60, s61                                    // 0000000100CC: 803C3D3C
	s_add_u32 s12, s60, s12                                    // 0000000100D0: 800C0C3C
	s_addc_u32 s13, 0, s13                                     // 0000000100D4: 820D0D80
	s_mul_i32 s60, s7, 0x108                                   // 0000000100D8: 923CFF07 00000108
	s_add_u32 m0, 0, s60                                       // 0000000100E0: 807C3C80
	s_mul_i32 s60, s7, 0x100                                   // 0000000100E4: 923CFF07 00000100
	v_lshlrev_b32_e32 v64, 2, v0                               // 0000000100EC: 24800082
	v_add_u32_e64 v64, v64, s60                                // 0000000100F0: D1340040 00007940
	v_add_u32_e32 v65, 0x400, v64                              // 0000000100F8: 688280FF 00000400
	v_add_u32_e32 v66, 0x800, v64                              // 000000010100: 688480FF 00000800
	v_add_u32_e32 v67, 0xc00, v64                              // 000000010108: 688680FF 00000C00
	buffer_load_dword v64, s[12:15], 0 offen lds               // 000000010110: E0511000 80030040
	s_mul_i32 s60, 4, 0x108                                    // 000000010118: 923CFF84 00000108
	s_add_u32 m0, m0, s60                                      // 000000010120: 807C3C7C
	buffer_load_dword v65, s[12:15], 0 offen lds               // 000000010124: E0511000 80030041
	s_mul_i32 s60, 4, 0x108                                    // 00000001012C: 923CFF84 00000108
	s_add_u32 m0, m0, s60                                      // 000000010134: 807C3C7C
	buffer_load_dword v66, s[12:15], 0 offen lds               // 000000010138: E0511000 80030042
	s_mul_i32 s60, 4, 0x108                                    // 000000010140: 923CFF84 00000108
	s_add_u32 m0, m0, s60                                      // 000000010148: 807C3C7C
	buffer_load_dword v67, s[12:15], 0 offen lds               // 00000001014C: E0511000 80030043
	s_mul_i32 s60, 4, 0x108                                    // 000000010154: 923CFF84 00000108
	s_add_u32 m0, m0, s60                                      // 00000001015C: 807C3C7C
	s_add_u32 s12, s74, s12                                    // 000000010160: 800C0C4A
	s_addc_u32 s13, 0, s13                                     // 000000010164: 820D0D80
	buffer_load_dword v64, s[12:15], 0 offen lds               // 000000010168: E0511000 80030040
	s_mul_i32 s60, 4, 0x108                                    // 000000010170: 923CFF84 00000108
	s_add_u32 m0, m0, s60                                      // 000000010178: 807C3C7C
	buffer_load_dword v65, s[12:15], 0 offen lds               // 00000001017C: E0511000 80030041
	s_mul_i32 s60, 4, 0x108                                    // 000000010184: 923CFF84 00000108
	s_add_u32 m0, m0, s60                                      // 00000001018C: 807C3C7C
	buffer_load_dword v66, s[12:15], 0 offen lds               // 000000010190: E0511000 80030042
	s_mul_i32 s60, 4, 0x108                                    // 000000010198: 923CFF84 00000108
	s_add_u32 m0, m0, s60                                      // 0000000101A0: 807C3C7C
	buffer_load_dword v67, s[12:15], 0 offen lds               // 0000000101A4: E0511000 80030043
	s_mul_i32 s60, 4, 0x108                                    // 0000000101AC: 923CFF84 00000108
	s_add_u32 m0, m0, s60                                      // 0000000101B4: 807C3C7C
	s_add_u32 s12, s74, s12                                    // 0000000101B8: 800C0C4A
	s_addc_u32 s13, 0, s13                                     // 0000000101BC: 820D0D80
	buffer_load_dword v64, s[12:15], 0 offen lds               // 0000000101C0: E0511000 80030040
	s_mul_i32 s60, 4, 0x108                                    // 0000000101C8: 923CFF84 00000108
	s_add_u32 m0, m0, s60                                      // 0000000101D0: 807C3C7C
	buffer_load_dword v65, s[12:15], 0 offen lds               // 0000000101D4: E0511000 80030041
	s_mul_i32 s60, 4, 0x108                                    // 0000000101DC: 923CFF84 00000108
	s_add_u32 m0, m0, s60                                      // 0000000101E4: 807C3C7C
	buffer_load_dword v66, s[12:15], 0 offen lds               // 0000000101E8: E0511000 80030042
	s_mul_i32 s60, 4, 0x108                                    // 0000000101F0: 923CFF84 00000108
	s_add_u32 m0, m0, s60                                      // 0000000101F8: 807C3C7C
	buffer_load_dword v67, s[12:15], 0 offen lds               // 0000000101FC: E0511000 80030043
	s_mul_i32 s60, 4, 0x108                                    // 000000010204: 923CFF84 00000108
	s_add_u32 m0, m0, s60                                      // 00000001020C: 807C3C7C
	s_add_u32 s12, s74, s12                                    // 000000010210: 800C0C4A
	s_addc_u32 s13, 0, s13                                     // 000000010214: 820D0D80
	v_lshrrev_b32_e32 v64, 4, v0                               // 000000010218: 20800084
	v_lshlrev_b32_e32 v64, 2, v64                              // 00000001021C: 24808082
	v_and_b32_e32 v65, 3, v0                                   // 000000010220: 26820083
	v_add_u32_e32 v64, v65, v64                                // 000000010224: 68808141
	v_lshlrev_b32_e32 v59, 2, v64                              // 000000010228: 24768082
	v_mov_b32_e32 v60, v59                                     // 00000001022C: 7E78033B
	s_mul_i32 s60, s2, 64                                      // 000000010230: 923CC002
	s_add_u32 s32, s60, s32                                    // 000000010234: 8020203C
	s_addc_u32 s33, 0, s33                                     // 000000010238: 82212180
	s_add_u32 s36, s60, s36                                    // 00000001023C: 8024243C
	s_addc_u32 s37, 0, s37                                     // 000000010240: 82252580
	s_mul_i32 s60, s2, s76                                     // 000000010244: 923C4C02
	s_mul_i32 s61, s84, s75                                    // 000000010248: 923D4B54
	s_add_u32 s60, s60, s61                                    // 00000001024C: 803C3D3C
	s_add_u32 s8, s60, s8                                      // 000000010250: 8008083C
	s_addc_u32 s9, 0, s9                                       // 000000010254: 82090980
	s_mov_b32 s70, 0                                           // 000000010258: BEC60080
	s_and_b32 s71, s72, 0xffffff00                             // 00000001025C: 8647FF48 FFFFFF00
	s_mov_b32 s42, 0xff00ff00                                  // 000000010264: BEAA00FF FF00FF00
	s_mov_b32 s43, 0xff00ff00                                  // 00000001026C: BEAB00FF FF00FF00
	s_mov_b32 s44, 0xf0f0f0f0                                  // 000000010274: BEAC00FF F0F0F0F0
	s_mov_b32 s45, 0xf0f0f0f0                                  // 00000001027C: BEAD00FF F0F0F0F0
	s_mov_b32 s78, 0xff00ff                                    // 000000010284: BECE00FF 00FF00FF
	s_mov_b32 s79, 0xff00ff                                    // 00000001028C: BECF00FF 00FF00FF
	v_mul_i32_i24_e64 v63, 64, s66                             // 000000010294: D106003F 000084C0
	v_mov_b32_e32 v54, s68                                     // 00000001029C: 7E6C0244
	s_mov_b32 s52, 0x7060302                                   // 0000000102A0: BEB400FF 07060302
	s_mov_b32 s53, 0x400                                       // 0000000102A8: BEB500FF 00000400
	s_mov_b32 s54, 0x40100                                     // 0000000102B0: BEB600FF 00040100
	s_mov_b32 s55, 0x4020100                                   // 0000000102B8: BEB700FF 04020100
	s_mov_b32 s6, 0x3fb8aa3b                                   // 0000000102C0: BE8600FF 3FB8AA3B
	v_mov_b32_e32 v11, 0xff800000                              // 0000000102C8: 7E1602FF FF800000
	v_mov_b32_e32 v12, 0xff800000                              // 0000000102D0: 7E1802FF FF800000
	v_mov_b32_e32 v49, 0                                       // 0000000102D8: 7E620280
	v_mov_b32_e32 v50, 0                                       // 0000000102DC: 7E640280
	v_mov_b32_e32 v51, 0                                       // 0000000102E0: 7E660280
	v_mov_b32_e32 v38, 0                                       // 0000000102E4: 7E4C0280
	v_mov_b32_e32 v39, 0                                       // 0000000102E8: 7E4E0280
	v_mov_b32_e32 v40, 0                                       // 0000000102EC: 7E500280
	v_mov_b32_e32 v44, 0                                       // 0000000102F0: 7E580280
	v_mov_b32_e32 v45, 0                                       // 0000000102F4: 7E5A0280
	v_mov_b32_e32 v46, 0                                       // 0000000102F8: 7E5C0280
	v_add_u32_e32 v1, s56, v1                                  // 0000000102FC: 68020238
	v_and_b32_e32 v7, 15, v0                                   // 000000010300: 260E008F
	v_lshlrev_b32_e32 v7, 2, v7                                // 000000010304: 240E0E82
	v_lshlrev_b32_e32 v8, 2, v0                                // 000000010308: 24100082
	s_mul_i32 s60, 0x100, s7                                   // 00000001030C: 923C07FF 00000100
	v_add_u32_e32 v8, s60, v8                                  // 000000010314: 6810103C
	v_lshrrev_b32_e32 v64, 4, v0                               // 000000010318: 20800084
	v_lshlrev_b32_e32 v65, 6, v64                              // 00000001031C: 24828086
	v_and_b32_e32 v64, 15, v0                                  // 000000010320: 2680008F
	v_lshlrev_b32_e32 v64, 1, v64                              // 000000010324: 24808081
	v_add_u32_e32 v65, v64, v65                                // 000000010328: 68828340
	v_lshlrev_b32_e32 v9, 2, v65                               // 00000001032C: 24128282
	v_lshrrev_b32_e32 v64, 5, v0                               // 000000010330: 20800085
	v_lshlrev_b32_e32 v65, 5, v64                              // 000000010334: 24828085
	v_and_b32_e32 v64, 31, v0                                  // 000000010338: 2680009F
	v_lshrrev_b32_e32 v66, 4, v64                              // 00000001033C: 20848084
	v_add_u32_e32 v65, v66, v65                                // 000000010340: 68828342
	v_and_b32_e32 v64, 15, v0                                  // 000000010344: 2680008F
	v_lshlrev_b32_e32 v64, 1, v64                              // 000000010348: 24808081
	v_add_u32_e32 v65, v64, v65                                // 00000001034C: 68828340
	v_lshlrev_b32_e32 v64, 2, v65                              // 000000010350: 24808282
	s_mul_i32 s60, 0x100, s7                                   // 000000010354: 923C07FF 00000100
	v_add_u32_e64 v10, v64, s60                                // 00000001035C: D134000A 00007940
	v_lshlrev_b32_e32 v5, 4, v0                                // 000000010364: 240A0084
	s_mul_i32 s60, s2, s69                                     // 000000010368: 923C4502
	s_add_u32 s16, s60, s16                                    // 00000001036C: 8010103C
	s_addc_u32 s17, 0, s17                                     // 000000010370: 82111180
	v_and_b32_e32 v64, 15, v0                                  // 000000010374: 2680008F
	v_lshlrev_b32_e32 v6, 4, v64                               // 000000010378: 240C8084
	s_mul_i32 s61, s2, s69                                     // 00000001037C: 923D4502
	s_mul_i32 s60, s7, 0x100                                   // 000000010380: 923CFF07 00000100
	s_add_u32 s60, s60, s61                                    // 000000010388: 803C3D3C
	s_add_u32 s20, s60, s20                                    // 00000001038C: 8014143C
	s_addc_u32 s21, 0, s21                                     // 000000010390: 82151580
	s_waitcnt vmcnt(4)                                         // 000000010394: BF8C0F74
	v_mul_u32_u24_dpp v64, v16, v54 row_newbcast:0 row_mask:0xf bank_mask:0xf// 000000010398: 10806CFA FF015010
	v_mul_u32_u24_dpp v65, v16, v54 row_newbcast:4 row_mask:0xf bank_mask:0xf// 0000000103A0: 10826CFA FF015410
	v_mul_u32_u24_dpp v66, v16, v54 row_newbcast:8 row_mask:0xf bank_mask:0xf// 0000000103A8: 10846CFA FF015810
	v_mul_u32_u24_dpp v67, v16, v54 row_newbcast:12 row_mask:0xf bank_mask:0xf// 0000000103B0: 10866CFA FF015C10
	v_add_u32_e32 v22, v64, v5                                 // 0000000103B8: 682C0B40
	v_add_u32_e32 v23, v65, v5                                 // 0000000103BC: 682E0B41
	v_add_u32_e32 v24, v66, v5                                 // 0000000103C0: 68300B42
	v_add_u32_e32 v25, v67, v5                                 // 0000000103C4: 68320B43
	v_mul_u32_u24_dpp v64, v16, v54 row_newbcast:1 row_mask:0xf bank_mask:0xf// 0000000103C8: 10806CFA FF015110
	v_mul_u32_u24_dpp v65, v16, v54 row_newbcast:5 row_mask:0xf bank_mask:0xf// 0000000103D0: 10826CFA FF015510
	v_mul_u32_u24_dpp v66, v16, v54 row_newbcast:9 row_mask:0xf bank_mask:0xf// 0000000103D8: 10846CFA FF015910
	v_mul_u32_u24_dpp v67, v16, v54 row_newbcast:13 row_mask:0xf bank_mask:0xf// 0000000103E0: 10866CFA FF015D10
	v_add_u32_e32 v30, v64, v6                                 // 0000000103E8: 683C0D40
	v_add_u32_e32 v31, v65, v6                                 // 0000000103EC: 683E0D41
	v_add_u32_e32 v32, v66, v6                                 // 0000000103F0: 68400D42
	v_add_u32_e32 v33, v67, v6                                 // 0000000103F4: 68420D43
	v_mul_u32_u24_dpp v64, v16, v63 quad_perm:[0,0,0,0] row_mask:0xf bank_mask:0xf// 0000000103F8: 10807EFA FF000010
	v_add_u32_e32 v2, v64, v59                                 // 000000010400: 68047740
	v_mul_u32_u24_dpp v64, v16, v63 quad_perm:[0,0,0,0] row_mask:0xf bank_mask:0xf// 000000010404: 10807EFA FF000010
	v_add_u32_e32 v55, v64, v60                                // 00000001040C: 686E7940
	buffer_load_dword v42, v2, s[32:35], 0 offen               // 000000010410: E0501000 80082A02
	buffer_load_dwordx4 a[0:3], v22, s[16:19], 0 offen         // 000000010418: E05C1000 80840016
	buffer_load_dwordx4 a[4:7], v22, s[16:19], 0 offen offset:1024// 000000010420: E05C1400 80840416
	buffer_load_dwordx4 a[8:11], v23, s[16:19], 0 offen        // 000000010428: E05C1000 80840817
	buffer_load_dwordx4 a[12:15], v23, s[16:19], 0 offen offset:1024// 000000010430: E05C1400 80840C17
	buffer_load_dwordx4 a[16:19], v24, s[16:19], 0 offen       // 000000010438: E05C1000 80841018
	buffer_load_dwordx4 a[20:23], v24, s[16:19], 0 offen offset:1024// 000000010440: E05C1400 80841418
	buffer_load_dwordx4 a[24:27], v25, s[16:19], 0 offen       // 000000010448: E05C1000 80841819
	buffer_load_dwordx4 a[28:31], v25, s[16:19], 0 offen offset:1024// 000000010450: E05C1400 80841C19
	buffer_load_dword v57, v55, s[36:39], 0 offen              // 000000010458: E0501000 80093937
	buffer_load_dwordx4 a[64:67], v30, s[20:23], 0 offen       // 000000010460: E05C1000 8085401E
	buffer_load_dwordx4 a[68:71], v31, s[20:23], 0 offen       // 000000010468: E05C1000 8085441F
	buffer_load_dwordx4 a[72:75], v32, s[20:23], 0 offen       // 000000010470: E05C1000 80854820
	buffer_load_dwordx4 a[76:79], v33, s[20:23], 0 offen       // 000000010478: E05C1000 80854C21
	buffer_load_dwordx4 a[80:83], v30, s[20:23], 0 offen offset:1024// 000000010480: E05C1400 8085501E
	buffer_load_dwordx4 a[84:87], v31, s[20:23], 0 offen offset:1024// 000000010488: E05C1400 8085541F
	buffer_load_dwordx4 a[88:91], v32, s[20:23], 0 offen offset:1024// 000000010490: E05C1400 80855820
	buffer_load_dwordx4 a[92:95], v33, s[20:23], 0 offen offset:1024// 000000010498: E05C1400 80855C21
	v_lshrrev_b32_e32 v64, 4, v0                               // 0000000104A0: 20800084
	v_lshlrev_b32_e32 v65, 1, v64                              // 0000000104A4: 24828081
	v_and_b32_e32 v64, 15, v0                                  // 0000000104A8: 2680008F
	v_mul_i32_i24_e32 v64, 0x42, v64                           // 0000000104AC: 0C8080FF 00000042
	v_add_u32_e32 v65, v64, v65                                // 0000000104B4: 68828340
	v_lshlrev_b32_e32 v4, 2, v65                               // 0000000104B8: 24088282
	s_mul_i32 s60, s7, 32                                      // 0000000104BC: 923CA007
	v_add_u32_e32 v4, s60, v4                                  // 0000000104C0: 6808083C
	s_waitcnt vmcnt(16) lgkmcnt(0)                             // 0000000104C4: BF8C4070
	s_barrier                                                  // 0000000104C8: BF8A0000
	ds_read_b64 v[80:81], v4                                   // 0000000104CC: D8EC0000 50000004
	ds_read_b64 v[84:85], v4 offset:128                        // 0000000104D4: D8EC0080 54000004
	s_waitcnt lgkmcnt(0)                                       // 0000000104DC: BF8CC07F
	v_and_b32_e32 v83, 0xffff0000, v81                         // 0000000104E0: 26A6A2FF FFFF0000
	v_lshlrev_b32_e32 v82, 16, v81                             // 0000000104E8: 24A4A290
	v_and_b32_e32 v81, 0xffff0000, v80                         // 0000000104EC: 26A2A0FF FFFF0000
	v_lshlrev_b32_e32 v80, 16, v80                             // 0000000104F4: 24A0A090
	v_and_b32_e32 v87, 0xffff0000, v85                         // 0000000104F8: 26AEAAFF FFFF0000
	v_lshlrev_b32_e32 v86, 16, v85                             // 000000010500: 24ACAA90
	v_and_b32_e32 v85, 0xffff0000, v84                         // 000000010504: 26AAA8FF FFFF0000
	v_lshlrev_b32_e32 v84, 16, v84                             // 00000001050C: 24A8A890
	v_mov_b32_e32 v48, 0x358637bd                              // 000000010510: 7E6002FF 358637BD
	v_max3_f32 v48, |v80|, |v81|, v48                          // 000000010518: D1D30330 04C2A350
	v_max3_f32 v48, |v82|, |v83|, v48                          // 000000010520: D1D30330 04C2A752
	v_max3_f32 v48, |v84|, |v85|, v48                          // 000000010528: D1D30330 04C2AB54
	v_max3_f32 v48, |v86|, |v87|, v48                          // 000000010530: D1D30330 04C2AF56
	ds_write_b32 v8, v48 offset:16896                          // 000000010538: D81A4200 00003008
	s_waitcnt lgkmcnt(0)                                       // 000000010540: BF8CC07F
	s_barrier                                                  // 000000010544: BF8A0000
	ds_read_b32 v64, v7 offset:16896                           // 000000010548: D86C4200 40000007
	ds_read_b32 v65, v7 offset:16960                           // 000000010550: D86C4240 41000007
	ds_read_b32 v66, v7 offset:17024                           // 000000010558: D86C4280 42000007
	ds_read_b32 v67, v7 offset:17088                           // 000000010560: D86C42C0 43000007
	ds_read_b32 v68, v7 offset:17152                           // 000000010568: D86C4300 44000007
	ds_read_b32 v69, v7 offset:17216                           // 000000010570: D86C4340 45000007
	ds_read_b32 v70, v7 offset:17280                           // 000000010578: D86C4380 46000007
	ds_read_b32 v71, v7 offset:17344                           // 000000010580: D86C43C0 47000007
	ds_read_b32 v72, v7 offset:17408                           // 000000010588: D86C4400 48000007
	ds_read_b32 v73, v7 offset:17472                           // 000000010590: D86C4440 49000007
	ds_read_b32 v74, v7 offset:17536                           // 000000010598: D86C4480 4A000007
	ds_read_b32 v75, v7 offset:17600                           // 0000000105A0: D86C44C0 4B000007
	ds_read_b32 v76, v7 offset:17664                           // 0000000105A8: D86C4500 4C000007
	ds_read_b32 v77, v7 offset:17728                           // 0000000105B0: D86C4540 4D000007
	ds_read_b32 v78, v7 offset:17792                           // 0000000105B8: D86C4580 4E000007
	ds_read_b32 v79, v7 offset:17856                           // 0000000105C0: D86C45C0 4F000007
	s_waitcnt lgkmcnt(0)                                       // 0000000105C8: BF8CC07F
	v_max3_f32 v48, |v64|, |v65|, v48                          // 0000000105CC: D1D30330 04C28340
	v_max3_f32 v48, |v66|, |v67|, v48                          // 0000000105D4: D1D30330 04C28742
	v_max3_f32 v48, |v68|, |v69|, v48                          // 0000000105DC: D1D30330 04C28B44
	v_max3_f32 v48, |v70|, |v71|, v48                          // 0000000105E4: D1D30330 04C28F46
	v_max3_f32 v48, |v72|, |v73|, v48                          // 0000000105EC: D1D30330 04C29348
	v_max3_f32 v48, |v74|, |v75|, v48                          // 0000000105F4: D1D30330 04C2974A
	v_max3_f32 v48, |v76|, |v77|, v48                          // 0000000105FC: D1D30330 04C29B4C
	v_max3_f32 v48, |v78|, |v79|, v48                          // 000000010604: D1D30330 04C29F4E
	v_rcp_f32_e32 v48, v48                                     // 00000001060C: 7E604530
	s_nop 1                                                    // 000000010610: BF800001
	v_mul_f32_e32 v48, 0x43e00000, v48                         // 000000010614: 0A6060FF 43E00000
	v_mul_f32_e32 v80, v48, v80                                // 00000001061C: 0AA0A130
	v_mul_f32_e32 v81, v48, v81                                // 000000010620: 0AA2A330
	v_mul_f32_e32 v82, v48, v82                                // 000000010624: 0AA4A530
	v_mul_f32_e32 v83, v48, v83                                // 000000010628: 0AA6A730
	v_mul_f32_e32 v84, v48, v84                                // 00000001062C: 0AA8A930
	v_mul_f32_e32 v85, v48, v85                                // 000000010630: 0AAAAB30
	v_mul_f32_e32 v86, v48, v86                                // 000000010634: 0AACAD30
	v_mul_f32_e32 v87, v48, v87                                // 000000010638: 0AAEAF30
	v_rcp_f32_e32 v18, v48                                     // 00000001063C: 7E244530
	v_cvt_pk_fp8_f32 v80, v80, v81                             // 000000010640: D2A20050 0002A350
	v_cvt_pk_fp8_f32 v80, v82, v83 op_sel:[0,0,1]              // 000000010648: D2A24050 0002A752
	v_cvt_pk_fp8_f32 v81, v84, v85                             // 000000010650: D2A20051 0002AB54
	v_cvt_pk_fp8_f32 v81, v86, v87 op_sel:[0,0,1]              // 000000010658: D2A24051 0002AF56
	ds_write_b32 v10, v80 offset:25088                         // 000000010660: D81A6200 0000500A
	ds_write_b32 v10, v81 offset:26112                         // 000000010668: D81A6600 0000510A
	s_waitcnt lgkmcnt(0)                                       // 000000010670: BF8CC07F
	s_barrier                                                  // 000000010674: BF8A0000
	ds_read_b64 v[80:81], v9 offset:25088                      // 000000010678: D8EC6200 50000009
	ds_read_b64 v[82:83], v9 offset:25216                      // 000000010680: D8EC6280 52000009
	ds_read_b64 v[84:85], v9 offset:26112                      // 000000010688: D8EC6600 54000009
	ds_read_b64 v[86:87], v9 offset:26240                      // 000000010690: D8EC6680 56000009
	v_mov_b32_e32 v208, 0                                      // 000000010698: 7FA00280
	v_mov_b32_e32 v209, 0                                      // 00000001069C: 7FA20280
	v_mov_b32_e32 v210, 0                                      // 0000000106A0: 7FA40280
	v_mov_b32_e32 v211, 0                                      // 0000000106A4: 7FA60280
	v_mov_b32_e32 v212, 0                                      // 0000000106A8: 7FA80280
	v_mov_b32_e32 v213, 0                                      // 0000000106AC: 7FAA0280
	v_mov_b32_e32 v214, 0                                      // 0000000106B0: 7FAC0280
	v_mov_b32_e32 v215, 0                                      // 0000000106B4: 7FAE0280
	v_mov_b32_e32 v176, 0                                      // 0000000106B8: 7F600280
	v_mov_b32_e32 v177, 0                                      // 0000000106BC: 7F620280
	v_mov_b32_e32 v178, 0                                      // 0000000106C0: 7F640280
	v_mov_b32_e32 v179, 0                                      // 0000000106C4: 7F660280
	v_mov_b32_e32 v180, 0                                      // 0000000106C8: 7F680280
	v_mov_b32_e32 v181, 0                                      // 0000000106CC: 7F6A0280
	v_mov_b32_e32 v182, 0                                      // 0000000106D0: 7F6C0280
	v_mov_b32_e32 v183, 0                                      // 0000000106D4: 7F6E0280
	ds_read_b64 v[88:89], v4 offset:4224                       // 0000000106D8: D8EC1080 58000004
	ds_read_b64 v[92:93], v4 offset:4352                       // 0000000106E0: D8EC1100 5C000004
	s_waitcnt lgkmcnt(0)                                       // 0000000106E8: BF8CC07F
	v_and_b32_e32 v91, 0xffff0000, v89                         // 0000000106EC: 26B6B2FF FFFF0000
	v_lshlrev_b32_e32 v90, 16, v89                             // 0000000106F4: 24B4B290
	v_and_b32_e32 v89, 0xffff0000, v88                         // 0000000106F8: 26B2B0FF FFFF0000
	v_lshlrev_b32_e32 v88, 16, v88                             // 000000010700: 24B0B090
	v_and_b32_e32 v95, 0xffff0000, v93                         // 000000010704: 26BEBAFF FFFF0000
	v_lshlrev_b32_e32 v94, 16, v93                             // 00000001070C: 24BCBA90
	v_and_b32_e32 v93, 0xffff0000, v92                         // 000000010710: 26BAB8FF FFFF0000
	v_lshlrev_b32_e32 v92, 16, v92                             // 000000010718: 24B8B890
	v_mov_b32_e32 v48, 0x358637bd                              // 00000001071C: 7E6002FF 358637BD
	v_max3_f32 v48, |v88|, |v89|, v48                          // 000000010724: D1D30330 04C2B358
	v_max3_f32 v48, |v90|, |v91|, v48                          // 00000001072C: D1D30330 04C2B75A
	v_max3_f32 v48, |v92|, |v93|, v48                          // 000000010734: D1D30330 04C2BB5C
	v_max3_f32 v48, |v94|, |v95|, v48                          // 00000001073C: D1D30330 04C2BF5E
	ds_write_b32 v8, v48 offset:16896                          // 000000010744: D81A4200 00003008
	s_waitcnt lgkmcnt(0)                                       // 00000001074C: BF8CC07F
	s_barrier                                                  // 000000010750: BF8A0000
	ds_read_b32 v64, v7 offset:16896                           // 000000010754: D86C4200 40000007
	ds_read_b32 v65, v7 offset:16960                           // 00000001075C: D86C4240 41000007
	ds_read_b32 v66, v7 offset:17024                           // 000000010764: D86C4280 42000007
	ds_read_b32 v67, v7 offset:17088                           // 00000001076C: D86C42C0 43000007
	ds_read_b32 v68, v7 offset:17152                           // 000000010774: D86C4300 44000007
	ds_read_b32 v69, v7 offset:17216                           // 00000001077C: D86C4340 45000007
	ds_read_b32 v70, v7 offset:17280                           // 000000010784: D86C4380 46000007
	ds_read_b32 v71, v7 offset:17344                           // 00000001078C: D86C43C0 47000007
	ds_read_b32 v72, v7 offset:17408                           // 000000010794: D86C4400 48000007
	ds_read_b32 v73, v7 offset:17472                           // 00000001079C: D86C4440 49000007
	ds_read_b32 v74, v7 offset:17536                           // 0000000107A4: D86C4480 4A000007
	ds_read_b32 v75, v7 offset:17600                           // 0000000107AC: D86C44C0 4B000007
	ds_read_b32 v76, v7 offset:17664                           // 0000000107B4: D86C4500 4C000007
	ds_read_b32 v77, v7 offset:17728                           // 0000000107BC: D86C4540 4D000007
	ds_read_b32 v78, v7 offset:17792                           // 0000000107C4: D86C4580 4E000007
	ds_read_b32 v79, v7 offset:17856                           // 0000000107CC: D86C45C0 4F000007
	s_waitcnt lgkmcnt(0)                                       // 0000000107D4: BF8CC07F
	v_max3_f32 v48, |v64|, |v65|, v48                          // 0000000107D8: D1D30330 04C28340
	v_max3_f32 v48, |v66|, |v67|, v48                          // 0000000107E0: D1D30330 04C28742
	v_max3_f32 v48, |v68|, |v69|, v48                          // 0000000107E8: D1D30330 04C28B44
	v_max3_f32 v48, |v70|, |v71|, v48                          // 0000000107F0: D1D30330 04C28F46
	v_max3_f32 v48, |v72|, |v73|, v48                          // 0000000107F8: D1D30330 04C29348
	v_max3_f32 v48, |v74|, |v75|, v48                          // 000000010800: D1D30330 04C2974A
	v_max3_f32 v48, |v76|, |v77|, v48                          // 000000010808: D1D30330 04C29B4C
	v_max3_f32 v48, |v78|, |v79|, v48                          // 000000010810: D1D30330 04C29F4E
	v_rcp_f32_e32 v48, v48                                     // 000000010818: 7E604530
	s_nop 1                                                    // 00000001081C: BF800001
	v_mul_f32_e32 v48, 0x43e00000, v48                         // 000000010820: 0A6060FF 43E00000
	v_mul_f32_e32 v88, v48, v88                                // 000000010828: 0AB0B130
	v_mul_f32_e32 v89, v48, v89                                // 00000001082C: 0AB2B330
	v_mul_f32_e32 v90, v48, v90                                // 000000010830: 0AB4B530
	v_mul_f32_e32 v91, v48, v91                                // 000000010834: 0AB6B730
	v_mul_f32_e32 v92, v48, v92                                // 000000010838: 0AB8B930
	v_mul_f32_e32 v93, v48, v93                                // 00000001083C: 0ABABB30
	v_mul_f32_e32 v94, v48, v94                                // 000000010840: 0ABCBD30
	v_mul_f32_e32 v95, v48, v95                                // 000000010844: 0ABEBF30
	v_rcp_f32_e32 v19, v48                                     // 000000010848: 7E264530
	v_cvt_pk_fp8_f32 v88, v88, v89                             // 00000001084C: D2A20058 0002B358
	v_cvt_pk_fp8_f32 v88, v90, v91 op_sel:[0,0,1]              // 000000010854: D2A24058 0002B75A
	v_cvt_pk_fp8_f32 v89, v92, v93                             // 00000001085C: D2A20059 0002BB5C
	v_cvt_pk_fp8_f32 v89, v94, v95 op_sel:[0,0,1]              // 000000010864: D2A24059 0002BF5E
	ds_write_b32 v10, v88 offset:25088                         // 00000001086C: D81A6200 0000580A
	ds_write_b32 v10, v89 offset:26112                         // 000000010874: D81A6600 0000590A
	s_waitcnt lgkmcnt(0)                                       // 00000001087C: BF8CC07F
	s_barrier                                                  // 000000010880: BF8A0000
	ds_read_b64 v[88:89], v9 offset:25088                      // 000000010884: D8EC6200 58000009
	ds_read_b64 v[90:91], v9 offset:25216                      // 00000001088C: D8EC6280 5A000009
	ds_read_b64 v[92:93], v9 offset:26112                      // 000000010894: D8EC6600 5C000009
	ds_read_b64 v[94:95], v9 offset:26240                      // 00000001089C: D8EC6680 5E000009
	v_mov_b32_e32 v216, 0                                      // 0000000108A4: 7FB00280
	v_mov_b32_e32 v217, 0                                      // 0000000108A8: 7FB20280
	v_mov_b32_e32 v218, 0                                      // 0000000108AC: 7FB40280
	v_mov_b32_e32 v219, 0                                      // 0000000108B0: 7FB60280
	v_mov_b32_e32 v220, 0                                      // 0000000108B4: 7FB80280
	v_mov_b32_e32 v221, 0                                      // 0000000108B8: 7FBA0280
	v_mov_b32_e32 v222, 0                                      // 0000000108BC: 7FBC0280
	v_mov_b32_e32 v223, 0                                      // 0000000108C0: 7FBE0280
	v_mov_b32_e32 v184, 0                                      // 0000000108C4: 7F700280
	v_mov_b32_e32 v185, 0                                      // 0000000108C8: 7F720280
	v_mov_b32_e32 v186, 0                                      // 0000000108CC: 7F740280
	v_mov_b32_e32 v187, 0                                      // 0000000108D0: 7F760280
	v_mov_b32_e32 v188, 0                                      // 0000000108D4: 7F780280
	v_mov_b32_e32 v189, 0                                      // 0000000108D8: 7F7A0280
	v_mov_b32_e32 v190, 0                                      // 0000000108DC: 7F7C0280
	v_mov_b32_e32 v191, 0                                      // 0000000108E0: 7F7E0280
	ds_read_b64 v[96:97], v4 offset:8448                       // 0000000108E4: D8EC2100 60000004
	ds_read_b64 v[100:101], v4 offset:8576                     // 0000000108EC: D8EC2180 64000004
	s_waitcnt lgkmcnt(0)                                       // 0000000108F4: BF8CC07F
	v_and_b32_e32 v99, 0xffff0000, v97                         // 0000000108F8: 26C6C2FF FFFF0000
	v_lshlrev_b32_e32 v98, 16, v97                             // 000000010900: 24C4C290
	v_and_b32_e32 v97, 0xffff0000, v96                         // 000000010904: 26C2C0FF FFFF0000
	v_lshlrev_b32_e32 v96, 16, v96                             // 00000001090C: 24C0C090
	v_and_b32_e32 v103, 0xffff0000, v101                       // 000000010910: 26CECAFF FFFF0000
	v_lshlrev_b32_e32 v102, 16, v101                           // 000000010918: 24CCCA90
	v_and_b32_e32 v101, 0xffff0000, v100                       // 00000001091C: 26CAC8FF FFFF0000
	v_lshlrev_b32_e32 v100, 16, v100                           // 000000010924: 24C8C890
	v_mov_b32_e32 v48, 0x358637bd                              // 000000010928: 7E6002FF 358637BD
	v_max3_f32 v48, |v96|, |v97|, v48                          // 000000010930: D1D30330 04C2C360
	v_max3_f32 v48, |v98|, |v99|, v48                          // 000000010938: D1D30330 04C2C762
	v_max3_f32 v48, |v100|, |v101|, v48                        // 000000010940: D1D30330 04C2CB64
	v_max3_f32 v48, |v102|, |v103|, v48                        // 000000010948: D1D30330 04C2CF66
	ds_write_b32 v8, v48 offset:16896                          // 000000010950: D81A4200 00003008
	s_waitcnt lgkmcnt(0)                                       // 000000010958: BF8CC07F
	s_barrier                                                  // 00000001095C: BF8A0000
	ds_read_b32 v64, v7 offset:16896                           // 000000010960: D86C4200 40000007
	ds_read_b32 v65, v7 offset:16960                           // 000000010968: D86C4240 41000007
	ds_read_b32 v66, v7 offset:17024                           // 000000010970: D86C4280 42000007
	ds_read_b32 v67, v7 offset:17088                           // 000000010978: D86C42C0 43000007
	ds_read_b32 v68, v7 offset:17152                           // 000000010980: D86C4300 44000007
	ds_read_b32 v69, v7 offset:17216                           // 000000010988: D86C4340 45000007
	ds_read_b32 v70, v7 offset:17280                           // 000000010990: D86C4380 46000007
	ds_read_b32 v71, v7 offset:17344                           // 000000010998: D86C43C0 47000007
	ds_read_b32 v72, v7 offset:17408                           // 0000000109A0: D86C4400 48000007
	ds_read_b32 v73, v7 offset:17472                           // 0000000109A8: D86C4440 49000007
	ds_read_b32 v74, v7 offset:17536                           // 0000000109B0: D86C4480 4A000007
	ds_read_b32 v75, v7 offset:17600                           // 0000000109B8: D86C44C0 4B000007
	ds_read_b32 v76, v7 offset:17664                           // 0000000109C0: D86C4500 4C000007
	ds_read_b32 v77, v7 offset:17728                           // 0000000109C8: D86C4540 4D000007
	ds_read_b32 v78, v7 offset:17792                           // 0000000109D0: D86C4580 4E000007
	ds_read_b32 v79, v7 offset:17856                           // 0000000109D8: D86C45C0 4F000007
	s_waitcnt lgkmcnt(0)                                       // 0000000109E0: BF8CC07F
	v_max3_f32 v48, |v64|, |v65|, v48                          // 0000000109E4: D1D30330 04C28340
	v_max3_f32 v48, |v66|, |v67|, v48                          // 0000000109EC: D1D30330 04C28742
	v_max3_f32 v48, |v68|, |v69|, v48                          // 0000000109F4: D1D30330 04C28B44
	v_max3_f32 v48, |v70|, |v71|, v48                          // 0000000109FC: D1D30330 04C28F46
	v_max3_f32 v48, |v72|, |v73|, v48                          // 000000010A04: D1D30330 04C29348
	v_max3_f32 v48, |v74|, |v75|, v48                          // 000000010A0C: D1D30330 04C2974A
	v_max3_f32 v48, |v76|, |v77|, v48                          // 000000010A14: D1D30330 04C29B4C
	v_max3_f32 v48, |v78|, |v79|, v48                          // 000000010A1C: D1D30330 04C29F4E
	v_rcp_f32_e32 v48, v48                                     // 000000010A24: 7E604530
	s_nop 1                                                    // 000000010A28: BF800001
	v_mul_f32_e32 v48, 0x43e00000, v48                         // 000000010A2C: 0A6060FF 43E00000
	v_mul_f32_e32 v96, v48, v96                                // 000000010A34: 0AC0C130
	v_mul_f32_e32 v97, v48, v97                                // 000000010A38: 0AC2C330
	v_mul_f32_e32 v98, v48, v98                                // 000000010A3C: 0AC4C530
	v_mul_f32_e32 v99, v48, v99                                // 000000010A40: 0AC6C730
	v_mul_f32_e32 v100, v48, v100                              // 000000010A44: 0AC8C930
	v_mul_f32_e32 v101, v48, v101                              // 000000010A48: 0ACACB30
	v_mul_f32_e32 v102, v48, v102                              // 000000010A4C: 0ACCCD30
	v_mul_f32_e32 v103, v48, v103                              // 000000010A50: 0ACECF30
	v_rcp_f32_e32 v20, v48                                     // 000000010A54: 7E284530
	v_cvt_pk_fp8_f32 v96, v96, v97                             // 000000010A58: D2A20060 0002C360
	v_cvt_pk_fp8_f32 v96, v98, v99 op_sel:[0,0,1]              // 000000010A60: D2A24060 0002C762
	v_cvt_pk_fp8_f32 v97, v100, v101                           // 000000010A68: D2A20061 0002CB64
	v_cvt_pk_fp8_f32 v97, v102, v103 op_sel:[0,0,1]            // 000000010A70: D2A24061 0002CF66
	ds_write_b32 v10, v96 offset:25088                         // 000000010A78: D81A6200 0000600A
	ds_write_b32 v10, v97 offset:26112                         // 000000010A80: D81A6600 0000610A
	s_waitcnt lgkmcnt(0)                                       // 000000010A88: BF8CC07F
	s_barrier                                                  // 000000010A8C: BF8A0000
	ds_read_b64 v[96:97], v9 offset:25088                      // 000000010A90: D8EC6200 60000009
	ds_read_b64 v[98:99], v9 offset:25216                      // 000000010A98: D8EC6280 62000009
	ds_read_b64 v[100:101], v9 offset:26112                    // 000000010AA0: D8EC6600 64000009
	ds_read_b64 v[102:103], v9 offset:26240                    // 000000010AA8: D8EC6680 66000009
	v_mov_b32_e32 v224, 0                                      // 000000010AB0: 7FC00280
	v_mov_b32_e32 v225, 0                                      // 000000010AB4: 7FC20280
	v_mov_b32_e32 v226, 0                                      // 000000010AB8: 7FC40280
	v_mov_b32_e32 v227, 0                                      // 000000010ABC: 7FC60280
	v_mov_b32_e32 v228, 0                                      // 000000010AC0: 7FC80280
	v_mov_b32_e32 v229, 0                                      // 000000010AC4: 7FCA0280
	v_mov_b32_e32 v230, 0                                      // 000000010AC8: 7FCC0280
	v_mov_b32_e32 v231, 0                                      // 000000010ACC: 7FCE0280
	v_mov_b32_e32 v192, 0                                      // 000000010AD0: 7F800280
	v_mov_b32_e32 v193, 0                                      // 000000010AD4: 7F820280
	v_mov_b32_e32 v194, 0                                      // 000000010AD8: 7F840280
	v_mov_b32_e32 v195, 0                                      // 000000010ADC: 7F860280
	v_mov_b32_e32 v196, 0                                      // 000000010AE0: 7F880280
	v_mov_b32_e32 v197, 0                                      // 000000010AE4: 7F8A0280
	v_mov_b32_e32 v198, 0                                      // 000000010AE8: 7F8C0280
	v_mov_b32_e32 v199, 0                                      // 000000010AEC: 7F8E0280
	s_waitcnt vmcnt(8) lgkmcnt(0)                              // 000000010AF0: BF8C0078
	s_barrier                                                  // 000000010AF4: BF8A0000
	s_cmp_lt_u32 s73, 16                                       // 000000010AF8: BF0A9049
	s_cbranch_scc1 label_5887                                  // 000000010AFC: BF851E47
	s_cmp_lt_i32 s7, 2                                         // 000000010B00: BF048207
	s_cbranch_scc0 label_4966                                  // 000000010B04: BF840F24

0000000000010b08 <label_3A42>:
	s_waitcnt vmcnt(8) lgkmcnt(0)                              // 000000010B08: BF8C0078
	v_mul_u32_u24_dpp v64, v17, v54 row_newbcast:0 row_mask:0xf bank_mask:0xf// 000000010B0C: 10806CFA FF015011
	v_mul_u32_u24_dpp v65, v17, v54 row_newbcast:4 row_mask:0xf bank_mask:0xf// 000000010B14: 10826CFA FF015411
	v_mul_u32_u24_dpp v66, v17, v54 row_newbcast:8 row_mask:0xf bank_mask:0xf// 000000010B1C: 10846CFA FF015811
	v_mul_u32_u24_dpp v67, v17, v54 row_newbcast:12 row_mask:0xf bank_mask:0xf// 000000010B24: 10866CFA FF015C11
	v_add_u32_e32 v26, v64, v5                                 // 000000010B2C: 68340B40
	v_add_u32_e32 v27, v65, v5                                 // 000000010B30: 68360B41
	v_add_u32_e32 v28, v66, v5                                 // 000000010B34: 68380B42
	v_add_u32_e32 v29, v67, v5                                 // 000000010B38: 683A0B43
	v_mul_u32_u24_dpp v64, v17, v63 quad_perm:[0,0,0,0] row_mask:0xf bank_mask:0xf// 000000010B3C: 10807EFA FF000011
	v_add_u32_e32 v3, v64, v59                                 // 000000010B44: 68067740
	v_mul_u32_u24_dpp v64, v17, v63 quad_perm:[0,0,0,0] row_mask:0xf bank_mask:0xf// 000000010B48: 10807EFA FF000011
	v_add_u32_e32 v56, v64, v60                                // 000000010B50: 68707940
	v_mfma_f32_16x16x32_fp8_fp8 v[112:115], a[0:1], v[80:81], 0// 000000010B54: D3F30070 0A02A100
	v_mfma_f32_16x16x32_fp8_fp8 v[112:115], a[2:3], v[82:83], v[112:115]// 000000010B5C: D3F30070 0DC2A502
	buffer_load_dwordx4 a[32:35], v26, s[16:19], 0 offen       // 000000010B64: E05C1000 8084201A
	v_mfma_f32_16x16x32_fp8_fp8 v[112:115], a[4:5], v[84:85], v[112:115]// 000000010B6C: D3F30070 0DC2A904
	v_mfma_f32_16x16x32_fp8_fp8 v[112:115], a[6:7], v[86:87], v[112:115]// 000000010B74: D3F30070 0DC2AD06
	buffer_load_dword v16, v1, s[24:27], 0 offen               // 000000010B7C: E0501000 80061001
	v_mfma_f32_16x16x32_fp8_fp8 v[116:119], a[8:9], v[80:81], 0// 000000010B84: D3F30074 0A02A108
	v_mfma_f32_16x16x32_fp8_fp8 v[116:119], a[10:11], v[82:83], v[116:119]// 000000010B8C: D3F30074 0DD2A50A
	buffer_load_dwordx4 a[36:39], v26, s[16:19], 0 offen offset:1024// 000000010B94: E05C1400 8084241A
	v_mfma_f32_16x16x32_fp8_fp8 v[116:119], a[12:13], v[84:85], v[116:119]// 000000010B9C: D3F30074 0DD2A90C
	v_mfma_f32_16x16x32_fp8_fp8 v[116:119], a[14:15], v[86:87], v[116:119]// 000000010BA4: D3F30074 0DD2AD0E
	v_mfma_f32_16x16x32_fp8_fp8 v[120:123], a[16:17], v[80:81], 0// 000000010BAC: D3F30078 0A02A110
	v_mfma_f32_16x16x32_fp8_fp8 v[120:123], a[18:19], v[82:83], v[120:123]// 000000010BB4: D3F30078 0DE2A512
	buffer_load_dwordx4 a[40:43], v27, s[16:19], 0 offen       // 000000010BBC: E05C1000 8084281B
	v_mfma_f32_16x16x32_fp8_fp8 v[120:123], a[20:21], v[84:85], v[120:123]// 000000010BC4: D3F30078 0DE2A914
	v_mfma_f32_16x16x32_fp8_fp8 v[120:123], a[22:23], v[86:87], v[120:123]// 000000010BCC: D3F30078 0DE2AD16
	v_mfma_f32_16x16x32_fp8_fp8 v[124:127], a[24:25], v[80:81], 0// 000000010BD4: D3F3007C 0A02A118
	v_mfma_f32_16x16x32_fp8_fp8 v[124:127], a[26:27], v[82:83], v[124:127]// 000000010BDC: D3F3007C 0DF2A51A
	buffer_load_dwordx4 a[44:47], v27, s[16:19], 0 offen offset:1024// 000000010BE4: E05C1400 80842C1B
	v_mfma_f32_16x16x32_fp8_fp8 v[124:127], a[28:29], v[84:85], v[124:127]// 000000010BEC: D3F3007C 0DF2A91C
	v_mfma_f32_16x16x32_fp8_fp8 v[124:127], a[30:31], v[86:87], v[124:127]// 000000010BF4: D3F3007C 0DF2AD1E
	v_mfma_f32_16x16x32_fp8_fp8 v[128:131], a[0:1], v[88:89], 0// 000000010BFC: D3F30080 0A02B100
	v_mfma_f32_16x16x32_fp8_fp8 v[128:131], a[2:3], v[90:91], v[128:131]// 000000010C04: D3F30080 0E02B502
	v_mfma_f32_16x16x32_fp8_fp8 v[128:131], a[4:5], v[92:93], v[128:131]// 000000010C0C: D3F30080 0E02B904
	v_mfma_f32_16x16x32_fp8_fp8 v[128:131], a[6:7], v[94:95], v[128:131]// 000000010C14: D3F30080 0E02BD06
	v_mfma_f32_16x16x32_fp8_fp8 v[132:135], a[8:9], v[88:89], 0// 000000010C1C: D3F30084 0A02B108
	v_mfma_f32_16x16x32_fp8_fp8 v[132:135], a[10:11], v[90:91], v[132:135]// 000000010C24: D3F30084 0E12B50A
	v_mfma_f32_16x16x32_fp8_fp8 v[132:135], a[12:13], v[92:93], v[132:135]// 000000010C2C: D3F30084 0E12B90C
	v_mfma_f32_16x16x32_fp8_fp8 v[132:135], a[14:15], v[94:95], v[132:135]// 000000010C34: D3F30084 0E12BD0E
	v_mfma_f32_16x16x32_fp8_fp8 v[136:139], a[16:17], v[88:89], 0// 000000010C3C: D3F30088 0A02B110
	v_mfma_f32_16x16x32_fp8_fp8 v[136:139], a[18:19], v[90:91], v[136:139]// 000000010C44: D3F30088 0E22B512
	v_mfma_f32_16x16x32_fp8_fp8 v[136:139], a[20:21], v[92:93], v[136:139]// 000000010C4C: D3F30088 0E22B914
	v_mfma_f32_16x16x32_fp8_fp8 v[136:139], a[22:23], v[94:95], v[136:139]// 000000010C54: D3F30088 0E22BD16
	v_mfma_f32_16x16x32_fp8_fp8 v[140:143], a[24:25], v[88:89], 0// 000000010C5C: D3F3008C 0A02B118
	v_mfma_f32_16x16x32_fp8_fp8 v[140:143], a[26:27], v[90:91], v[140:143]// 000000010C64: D3F3008C 0E32B51A
	v_mfma_f32_16x16x32_fp8_fp8 v[140:143], a[28:29], v[92:93], v[140:143]// 000000010C6C: D3F3008C 0E32B91C
	v_mfma_f32_16x16x32_fp8_fp8 v[140:143], a[30:31], v[94:95], v[140:143]// 000000010C74: D3F3008C 0E32BD1E
	v_mfma_f32_16x16x32_fp8_fp8 v[144:147], a[0:1], v[96:97], 0// 000000010C7C: D3F30090 0A02C100
	v_mfma_f32_16x16x32_fp8_fp8 v[144:147], a[2:3], v[98:99], v[144:147]// 000000010C84: D3F30090 0E42C502
	v_mfma_f32_16x16x32_fp8_fp8 v[144:147], a[4:5], v[100:101], v[144:147]// 000000010C8C: D3F30090 0E42C904
	v_mfma_f32_16x16x32_fp8_fp8 v[144:147], a[6:7], v[102:103], v[144:147]// 000000010C94: D3F30090 0E42CD06
	v_mfma_f32_16x16x32_fp8_fp8 v[148:151], a[8:9], v[96:97], 0// 000000010C9C: D3F30094 0A02C108
	v_mfma_f32_16x16x32_fp8_fp8 v[148:151], a[10:11], v[98:99], v[148:151]// 000000010CA4: D3F30094 0E52C50A
	v_mfma_f32_16x16x32_fp8_fp8 v[148:151], a[12:13], v[100:101], v[148:151]// 000000010CAC: D3F30094 0E52C90C
	v_mfma_f32_16x16x32_fp8_fp8 v[148:151], a[14:15], v[102:103], v[148:151]// 000000010CB4: D3F30094 0E52CD0E
	v_mfma_f32_16x16x32_fp8_fp8 v[152:155], a[16:17], v[96:97], 0// 000000010CBC: D3F30098 0A02C110
	v_mfma_f32_16x16x32_fp8_fp8 v[152:155], a[18:19], v[98:99], v[152:155]// 000000010CC4: D3F30098 0E62C512
	v_mfma_f32_16x16x32_fp8_fp8 v[152:155], a[20:21], v[100:101], v[152:155]// 000000010CCC: D3F30098 0E62C914
	v_mfma_f32_16x16x32_fp8_fp8 v[152:155], a[22:23], v[102:103], v[152:155]// 000000010CD4: D3F30098 0E62CD16
	v_mfma_f32_16x16x32_fp8_fp8 v[156:159], a[24:25], v[96:97], 0// 000000010CDC: D3F3009C 0A02C118
	v_mfma_f32_16x16x32_fp8_fp8 v[156:159], a[26:27], v[98:99], v[156:159]// 000000010CE4: D3F3009C 0E72C51A
	v_mfma_f32_16x16x32_fp8_fp8 v[156:159], a[28:29], v[100:101], v[156:159]// 000000010CEC: D3F3009C 0E72C91C
	v_mfma_f32_16x16x32_fp8_fp8 v[156:159], a[30:31], v[102:103], v[156:159]// 000000010CF4: D3F3009C 0E72CD1E
	buffer_load_dword v43, v3, s[32:35], 0 offen               // 000000010CFC: E0501000 80082B03
	v_mov_b32_dpp v64, v42 row_shr:4 row_mask:0xf bank_mask:0xf// 000000010D04: 7E8002FA FF01142A
	v_mov_b32_dpp v65, v42 row_shl:4 row_mask:0xf bank_mask:0xf// 000000010D0C: 7E8202FA FF01042A
	v_cndmask_b32_e64 v248, v42, v64, s[44:45]                 // 000000010D14: D10000F8 00B2812A
	v_cndmask_b32_e64 v249, v65, v42, s[44:45]                 // 000000010D1C: D10000F9 00B25541
	v_mov_b32_dpp v64, v248 row_shr:8 row_mask:0xf bank_mask:0xf// 000000010D24: 7E8002FA FF0118F8
	v_mov_b32_dpp v65, v248 row_shl:8 row_mask:0xf bank_mask:0xf// 000000010D2C: 7E8202FA FF0108F8
	v_mov_b32_dpp v66, v249 row_shr:8 row_mask:0xf bank_mask:0xf// 000000010D34: 7E8402FA FF0118F9
	v_mov_b32_dpp v67, v249 row_shl:8 row_mask:0xf bank_mask:0xf// 000000010D3C: 7E8602FA FF0108F9
	v_mov_b32_e32 v68, v248                                    // 000000010D44: 7E8803F8
	v_mov_b32_e32 v69, v249                                    // 000000010D48: 7E8A03F9
	v_cndmask_b32_e64 v248, v68, v64, s[42:43]                 // 000000010D4C: D10000F8 00AA8144
	v_cndmask_b32_e64 v250, v68, v65, s[78:79]                 // 000000010D54: D10000FA 013A8344
	v_cndmask_b32_e64 v249, v69, v66, s[42:43]                 // 000000010D5C: D10000F9 00AA8545
	v_cndmask_b32_e64 v251, v69, v67, s[78:79]                 // 000000010D64: D10000FB 013A8745
	v_mov_b32_dpp v64, v57 row_shr:4 row_mask:0xf bank_mask:0xf// 000000010D6C: 7E8002FA FF011439
	v_mov_b32_dpp v65, v57 row_shl:4 row_mask:0xf bank_mask:0xf// 000000010D74: 7E8202FA FF010439
	v_cndmask_b32_e64 v252, v57, v64, s[44:45]                 // 000000010D7C: D10000FC 00B28139
	v_cndmask_b32_e64 v253, v65, v57, s[44:45]                 // 000000010D84: D10000FD 00B27341
	v_mov_b32_dpp v64, v252 row_shr:8 row_mask:0xf bank_mask:0xf// 000000010D8C: 7E8002FA FF0118FC
	v_mov_b32_dpp v65, v252 row_shl:8 row_mask:0xf bank_mask:0xf// 000000010D94: 7E8202FA FF0108FC
	v_mov_b32_dpp v66, v253 row_shr:8 row_mask:0xf bank_mask:0xf// 000000010D9C: 7E8402FA FF0118FD
	v_mov_b32_dpp v67, v253 row_shl:8 row_mask:0xf bank_mask:0xf// 000000010DA4: 7E8602FA FF0108FD
	v_mov_b32_e32 v68, v252                                    // 000000010DAC: 7E8803FC
	v_mov_b32_e32 v69, v253                                    // 000000010DB0: 7E8A03FD
	v_cndmask_b32_e64 v252, v68, v64, s[42:43]                 // 000000010DB4: D10000FC 00AA8144
	v_cndmask_b32_e64 v254, v68, v65, s[78:79]                 // 000000010DBC: D10000FE 013A8344
	v_cndmask_b32_e64 v253, v69, v66, s[42:43]                 // 000000010DC4: D10000FD 00AA8545
	v_cndmask_b32_e64 v255, v69, v67, s[78:79]                 // 000000010DCC: D10000FF 013A8745
	buffer_load_dword v58, v56, s[36:39], 0 offen              // 000000010DD4: E0501000 80093A38
	v_mul_f32_e32 v112, v18, v112                              // 000000010DDC: 0AE0E112
	v_mul_f32_e32 v113, v18, v113                              // 000000010DE0: 0AE2E312
	v_mul_f32_e32 v114, v18, v114                              // 000000010DE4: 0AE4E512
	v_mul_f32_e32 v115, v18, v115                              // 000000010DE8: 0AE6E712
	v_mul_f32_e32 v116, v18, v116                              // 000000010DEC: 0AE8E912
	v_mul_f32_e32 v117, v18, v117                              // 000000010DF0: 0AEAEB12
	v_mul_f32_e32 v118, v18, v118                              // 000000010DF4: 0AECED12
	v_mul_f32_e32 v119, v18, v119                              // 000000010DF8: 0AEEEF12
	v_mul_f32_e32 v120, v18, v120                              // 000000010DFC: 0AF0F112
	v_mul_f32_e32 v121, v18, v121                              // 000000010E00: 0AF2F312
	v_mul_f32_e32 v122, v18, v122                              // 000000010E04: 0AF4F512
	v_mul_f32_e32 v123, v18, v123                              // 000000010E08: 0AF6F712
	v_mul_f32_e32 v124, v18, v124                              // 000000010E0C: 0AF8F912
	v_mul_f32_e32 v125, v18, v125                              // 000000010E10: 0AFAFB12
	v_mul_f32_e32 v126, v18, v126                              // 000000010E14: 0AFCFD12
	v_mul_f32_e32 v127, v18, v127                              // 000000010E18: 0AFEFF12
	buffer_load_dwordx4 a[48:51], v28, s[16:19], 0 offen       // 000000010E1C: E05C1000 8084301C
	v_mul_f32_dpp v112, v248, v112 quad_perm:[0,0,0,0] row_mask:0xf bank_mask:0xf// 000000010E24: 0AE0E0FA FF0000F8
	v_mul_f32_dpp v113, v248, v113 quad_perm:[1,1,1,1] row_mask:0xf bank_mask:0xf// 000000010E2C: 0AE2E2FA FF0055F8
	v_mul_f32_dpp v114, v248, v114 quad_perm:[2,2,2,2] row_mask:0xf bank_mask:0xf// 000000010E34: 0AE4E4FA FF00AAF8
	v_mul_f32_dpp v115, v248, v115 quad_perm:[3,3,3,3] row_mask:0xf bank_mask:0xf// 000000010E3C: 0AE6E6FA FF00FFF8
	v_mul_f32_dpp v116, v249, v116 quad_perm:[0,0,0,0] row_mask:0xf bank_mask:0xf// 000000010E44: 0AE8E8FA FF0000F9
	v_mul_f32_dpp v117, v249, v117 quad_perm:[1,1,1,1] row_mask:0xf bank_mask:0xf// 000000010E4C: 0AEAEAFA FF0055F9
	v_mul_f32_dpp v118, v249, v118 quad_perm:[2,2,2,2] row_mask:0xf bank_mask:0xf// 000000010E54: 0AECECFA FF00AAF9
	v_mul_f32_dpp v119, v249, v119 quad_perm:[3,3,3,3] row_mask:0xf bank_mask:0xf// 000000010E5C: 0AEEEEFA FF00FFF9
	v_mul_f32_dpp v120, v250, v120 quad_perm:[0,0,0,0] row_mask:0xf bank_mask:0xf// 000000010E64: 0AF0F0FA FF0000FA
	v_mul_f32_dpp v121, v250, v121 quad_perm:[1,1,1,1] row_mask:0xf bank_mask:0xf// 000000010E6C: 0AF2F2FA FF0055FA
	v_mul_f32_dpp v122, v250, v122 quad_perm:[2,2,2,2] row_mask:0xf bank_mask:0xf// 000000010E74: 0AF4F4FA FF00AAFA
	v_mul_f32_dpp v123, v250, v123 quad_perm:[3,3,3,3] row_mask:0xf bank_mask:0xf// 000000010E7C: 0AF6F6FA FF00FFFA
	v_mul_f32_dpp v124, v251, v124 quad_perm:[0,0,0,0] row_mask:0xf bank_mask:0xf// 000000010E84: 0AF8F8FA FF0000FB
	v_mul_f32_dpp v125, v251, v125 quad_perm:[1,1,1,1] row_mask:0xf bank_mask:0xf// 000000010E8C: 0AFAFAFA FF0055FB
	v_mul_f32_dpp v126, v251, v126 quad_perm:[2,2,2,2] row_mask:0xf bank_mask:0xf// 000000010E94: 0AFCFCFA FF00AAFB
	v_mul_f32_dpp v127, v251, v127 quad_perm:[3,3,3,3] row_mask:0xf bank_mask:0xf// 000000010E9C: 0AFEFEFA FF00FFFB
	buffer_load_dwordx4 a[52:55], v28, s[16:19], 0 offen offset:1024// 000000010EA4: E05C1400 8084341C
	s_cmp_le_i32 s90, s89                                      // 000000010EAC: BF05595A
	s_cbranch_scc1 label_3B9E                                  // 000000010EB0: BF850071
	v_mov_b32_e32 v66, 0xff800000                              // 000000010EB4: 7E8402FF FF800000
	s_mov_b32 s60, s90                                         // 000000010EBC: BEBC005A
	s_add_u32 s61, s89, 0xff                                   // 000000010EC0: 803DFF59 000000FF
	v_mov_b32_e32 v64, s61                                     // 000000010EC8: 7E80023D
	v_lshrrev_b32_e32 v240, 4, v0                              // 000000010ECC: 21E00084
	v_mul_i32_i24_e32 v240, 4, v240                            // 000000010ED0: 0DE1E084
	v_add_u32_e32 v240, s60, v240                              // 000000010ED4: 69E1E03C
	s_mov_b32 s61, 0                                           // 000000010ED8: BEBD0080
	s_mul_i32 s60, 16, s7                                      // 000000010EDC: 923C0790
	v_sub_u32_e64 v240, v240, s61                              // 000000010EE0: D13500F0 00007BF0
	v_add_u32_e32 v240, s60, v240                              // 000000010EE8: 69E1E03C
	v_add_u32_e32 v241, 1, v240                                // 000000010EEC: 69E3E081
	v_add_u32_e32 v242, 2, v240                                // 000000010EF0: 69E5E082
	v_add_u32_e32 v243, 3, v240                                // 000000010EF4: 69E7E083
	v_cmp_le_u32_e64 s[40:41], v240, v64                       // 000000010EF8: D0CB0028 000281F0
	v_add_u32_e32 v240, 64, v240                               // 000000010F00: 69E1E0C0
	s_nop 0                                                    // 000000010F04: BF800000
	v_cndmask_b32_e64 v112, v66, v112, s[40:41]                // 000000010F08: D1000070 00A2E142
	v_cmp_le_u32_e64 s[40:41], v241, v64                       // 000000010F10: D0CB0028 000281F1
	v_add_u32_e32 v241, 64, v241                               // 000000010F18: 69E3E2C0
	s_nop 0                                                    // 000000010F1C: BF800000
	v_cndmask_b32_e64 v113, v66, v113, s[40:41]                // 000000010F20: D1000071 00A2E342
	v_cmp_le_u32_e64 s[40:41], v242, v64                       // 000000010F28: D0CB0028 000281F2
	v_add_u32_e32 v242, 64, v242                               // 000000010F30: 69E5E4C0
	s_nop 0                                                    // 000000010F34: BF800000
	v_cndmask_b32_e64 v114, v66, v114, s[40:41]                // 000000010F38: D1000072 00A2E542
	v_cmp_le_u32_e64 s[40:41], v243, v64                       // 000000010F40: D0CB0028 000281F3
	v_add_u32_e32 v243, 64, v243                               // 000000010F48: 69E7E6C0
	s_nop 0                                                    // 000000010F4C: BF800000
	v_cndmask_b32_e64 v115, v66, v115, s[40:41]                // 000000010F50: D1000073 00A2E742
	v_cmp_le_u32_e64 s[40:41], v240, v64                       // 000000010F58: D0CB0028 000281F0
	v_add_u32_e32 v240, 64, v240                               // 000000010F60: 69E1E0C0
	s_nop 0                                                    // 000000010F64: BF800000
	v_cndmask_b32_e64 v116, v66, v116, s[40:41]                // 000000010F68: D1000074 00A2E942
	v_cmp_le_u32_e64 s[40:41], v241, v64                       // 000000010F70: D0CB0028 000281F1
	v_add_u32_e32 v241, 64, v241                               // 000000010F78: 69E3E2C0
	s_nop 0                                                    // 000000010F7C: BF800000
	v_cndmask_b32_e64 v117, v66, v117, s[40:41]                // 000000010F80: D1000075 00A2EB42
	v_cmp_le_u32_e64 s[40:41], v242, v64                       // 000000010F88: D0CB0028 000281F2
	v_add_u32_e32 v242, 64, v242                               // 000000010F90: 69E5E4C0
	s_nop 0                                                    // 000000010F94: BF800000
	v_cndmask_b32_e64 v118, v66, v118, s[40:41]                // 000000010F98: D1000076 00A2ED42
	v_cmp_le_u32_e64 s[40:41], v243, v64                       // 000000010FA0: D0CB0028 000281F3
	v_add_u32_e32 v243, 64, v243                               // 000000010FA8: 69E7E6C0
	s_nop 0                                                    // 000000010FAC: BF800000
	v_cndmask_b32_e64 v119, v66, v119, s[40:41]                // 000000010FB0: D1000077 00A2EF42
	v_cmp_le_u32_e64 s[40:41], v240, v64                       // 000000010FB8: D0CB0028 000281F0
	v_add_u32_e32 v240, 64, v240                               // 000000010FC0: 69E1E0C0
	s_nop 0                                                    // 000000010FC4: BF800000
	v_cndmask_b32_e64 v120, v66, v120, s[40:41]                // 000000010FC8: D1000078 00A2F142
	v_cmp_le_u32_e64 s[40:41], v241, v64                       // 000000010FD0: D0CB0028 000281F1
	v_add_u32_e32 v241, 64, v241                               // 000000010FD8: 69E3E2C0
	s_nop 0                                                    // 000000010FDC: BF800000
	v_cndmask_b32_e64 v121, v66, v121, s[40:41]                // 000000010FE0: D1000079 00A2F342
	v_cmp_le_u32_e64 s[40:41], v242, v64                       // 000000010FE8: D0CB0028 000281F2
	v_add_u32_e32 v242, 64, v242                               // 000000010FF0: 69E5E4C0
	s_nop 0                                                    // 000000010FF4: BF800000
	v_cndmask_b32_e64 v122, v66, v122, s[40:41]                // 000000010FF8: D100007A 00A2F542
	v_cmp_le_u32_e64 s[40:41], v243, v64                       // 000000011000: D0CB0028 000281F3
	v_add_u32_e32 v243, 64, v243                               // 000000011008: 69E7E6C0
	s_nop 0                                                    // 00000001100C: BF800000
	v_cndmask_b32_e64 v123, v66, v123, s[40:41]                // 000000011010: D100007B 00A2F742
	v_cmp_le_u32_e64 s[40:41], v240, v64                       // 000000011018: D0CB0028 000281F0
	v_add_u32_e32 v240, 64, v240                               // 000000011020: 69E1E0C0
	s_nop 0                                                    // 000000011024: BF800000
	v_cndmask_b32_e64 v124, v66, v124, s[40:41]                // 000000011028: D100007C 00A2F942
	v_cmp_le_u32_e64 s[40:41], v241, v64                       // 000000011030: D0CB0028 000281F1
	v_add_u32_e32 v241, 64, v241                               // 000000011038: 69E3E2C0
	s_nop 0                                                    // 00000001103C: BF800000
	v_cndmask_b32_e64 v125, v66, v125, s[40:41]                // 000000011040: D100007D 00A2FB42
	v_cmp_le_u32_e64 s[40:41], v242, v64                       // 000000011048: D0CB0028 000281F2
	v_add_u32_e32 v242, 64, v242                               // 000000011050: 69E5E4C0
	s_nop 0                                                    // 000000011054: BF800000
	v_cndmask_b32_e64 v126, v66, v126, s[40:41]                // 000000011058: D100007E 00A2FD42
	v_cmp_le_u32_e64 s[40:41], v243, v64                       // 000000011060: D0CB0028 000281F3
	v_add_u32_e32 v243, 64, v243                               // 000000011068: 69E7E6C0
	s_nop 0                                                    // 00000001106C: BF800000
	v_cndmask_b32_e64 v127, v66, v127, s[40:41]                // 000000011070: D100007F 00A2FF42

0000000000011078 <label_3B9E>:
	v_mov_b32_e32 v48, v112                                    // 000000011078: 7E600370
	v_max3_f32 v48, v112, v113, v48                            // 00000001107C: D1D30030 04C2E370
	v_max3_f32 v48, v114, v115, v48                            // 000000011084: D1D30030 04C2E772
	v_max3_f32 v48, v116, v117, v48                            // 00000001108C: D1D30030 04C2EB74
	v_max3_f32 v48, v118, v119, v48                            // 000000011094: D1D30030 04C2EF76
	v_max3_f32 v48, v120, v121, v48                            // 00000001109C: D1D30030 04C2F378
	v_max3_f32 v48, v122, v123, v48                            // 0000000110A4: D1D30030 04C2F77A
	v_max3_f32 v48, v124, v125, v48                            // 0000000110AC: D1D30030 04C2FB7C
	v_max3_f32 v48, v126, v127, v48                            // 0000000110B4: D1D30030 04C2FF7E
	ds_write_b32 v8, v48 offset:16896                          // 0000000110BC: D81A4200 00003008
	buffer_load_dwordx4 a[56:59], v29, s[16:19], 0 offen       // 0000000110C4: E05C1000 8084381D
	v_mul_u32_u24_dpp v64, v17, v54 row_newbcast:1 row_mask:0xf bank_mask:0xf// 0000000110CC: 10806CFA FF015111
	v_mul_u32_u24_dpp v65, v17, v54 row_newbcast:5 row_mask:0xf bank_mask:0xf// 0000000110D4: 10826CFA FF015511
	v_mul_u32_u24_dpp v66, v17, v54 row_newbcast:9 row_mask:0xf bank_mask:0xf// 0000000110DC: 10846CFA FF015911
	v_mul_u32_u24_dpp v67, v17, v54 row_newbcast:13 row_mask:0xf bank_mask:0xf// 0000000110E4: 10866CFA FF015D11
	v_add_u32_e32 v34, v64, v6                                 // 0000000110EC: 68440D40
	v_add_u32_e32 v35, v65, v6                                 // 0000000110F0: 68460D41
	v_add_u32_e32 v36, v66, v6                                 // 0000000110F4: 68480D42
	v_add_u32_e32 v37, v67, v6                                 // 0000000110F8: 684A0D43
	v_mul_f32_e32 v208, v49, v208                              // 0000000110FC: 0BA1A131
	v_mul_f32_e32 v209, v49, v209                              // 000000011100: 0BA3A331
	v_mul_f32_e32 v210, v49, v210                              // 000000011104: 0BA5A531
	v_mul_f32_e32 v211, v49, v211                              // 000000011108: 0BA7A731
	v_mul_f32_e32 v212, v49, v212                              // 00000001110C: 0BA9A931
	v_mul_f32_e32 v213, v49, v213                              // 000000011110: 0BABAB31
	v_mul_f32_e32 v214, v49, v214                              // 000000011114: 0BADAD31
	v_mul_f32_e32 v215, v49, v215                              // 000000011118: 0BAFAF31
	s_waitcnt lgkmcnt(0)                                       // 00000001111C: BF8CC07F
	s_barrier                                                  // 000000011120: BF8A0000
	ds_read_b32 v64, v7 offset:16896                           // 000000011124: D86C4200 40000007
	ds_read_b32 v65, v7 offset:16960                           // 00000001112C: D86C4240 41000007
	ds_read_b32 v66, v7 offset:17024                           // 000000011134: D86C4280 42000007
	ds_read_b32 v67, v7 offset:17088                           // 00000001113C: D86C42C0 43000007
	ds_read_b32 v68, v7 offset:17152                           // 000000011144: D86C4300 44000007
	ds_read_b32 v69, v7 offset:17216                           // 00000001114C: D86C4340 45000007
	ds_read_b32 v70, v7 offset:17280                           // 000000011154: D86C4380 46000007
	ds_read_b32 v71, v7 offset:17344                           // 00000001115C: D86C43C0 47000007
	ds_read_b32 v72, v7 offset:17408                           // 000000011164: D86C4400 48000007
	ds_read_b32 v73, v7 offset:17472                           // 00000001116C: D86C4440 49000007
	ds_read_b32 v74, v7 offset:17536                           // 000000011174: D86C4480 4A000007
	ds_read_b32 v75, v7 offset:17600                           // 00000001117C: D86C44C0 4B000007
	ds_read_b32 v76, v7 offset:17664                           // 000000011184: D86C4500 4C000007
	ds_read_b32 v77, v7 offset:17728                           // 00000001118C: D86C4540 4D000007
	ds_read_b32 v78, v7 offset:17792                           // 000000011194: D86C4580 4E000007
	ds_read_b32 v79, v7 offset:17856                           // 00000001119C: D86C45C0 4F000007
	buffer_load_dwordx4 a[60:63], v29, s[16:19], 0 offen offset:1024// 0000000111A4: E05C1400 80843C1D
	v_mul_f32_e32 v176, v44, v176                              // 0000000111AC: 0B61612C
	v_mul_f32_e32 v177, v44, v177                              // 0000000111B0: 0B63632C
	v_mul_f32_e32 v178, v44, v178                              // 0000000111B4: 0B65652C
	v_mul_f32_e32 v179, v44, v179                              // 0000000111B8: 0B67672C
	v_mul_f32_e32 v180, v44, v180                              // 0000000111BC: 0B69692C
	v_mul_f32_e32 v181, v44, v181                              // 0000000111C0: 0B6B6B2C
	v_mul_f32_e32 v182, v44, v182                              // 0000000111C4: 0B6D6D2C
	v_mul_f32_e32 v183, v44, v183                              // 0000000111C8: 0B6F6F2C
	s_waitcnt lgkmcnt(0)                                       // 0000000111CC: BF8CC07F
	v_max3_f32 v48, v64, v65, v48                              // 0000000111D0: D1D30030 04C28340
	v_max3_f32 v48, v66, v67, v48                              // 0000000111D8: D1D30030 04C28742
	v_max3_f32 v48, v68, v69, v48                              // 0000000111E0: D1D30030 04C28B44
	v_max3_f32 v48, v70, v71, v48                              // 0000000111E8: D1D30030 04C28F46
	v_max3_f32 v48, v72, v73, v48                              // 0000000111F0: D1D30030 04C29348
	v_max3_f32 v48, v74, v75, v48                              // 0000000111F8: D1D30030 04C2974A
	v_max3_f32 v48, v76, v77, v48                              // 000000011200: D1D30030 04C29B4C
	v_max3_f32 v48, v78, v79, v48                              // 000000011208: D1D30030 04C29F4E
	buffer_load_dwordx4 a[96:99], v34, s[20:23], 0 offen       // 000000011210: E05C1000 80856022
	v_mov_b32_e32 v64, 0xff800000                              // 000000011218: 7E8002FF FF800000
	v_cmp_eq_u32_e64 s[40:41], v64, v11                        // 000000011220: D0CA0028 00021740
	s_nop 1                                                    // 000000011228: BF800001
	v_max_f32_e32 v15, v48, v11                                // 00000001122C: 161E1730
	v_mul_f32_e32 v53, s64, v15                                // 000000011230: 0A6A1E40
	v_fma_f32 v112, v112, s64, -v53                            // 000000011234: D1CB0070 84D48170
	v_fma_f32 v113, v113, s64, -v53                            // 00000001123C: D1CB0071 84D48171
	v_fma_f32 v114, v114, s64, -v53                            // 000000011244: D1CB0072 84D48172
	v_fma_f32 v115, v115, s64, -v53                            // 00000001124C: D1CB0073 84D48173
	v_fma_f32 v116, v116, s64, -v53                            // 000000011254: D1CB0074 84D48174
	v_fma_f32 v117, v117, s64, -v53                            // 00000001125C: D1CB0075 84D48175
	v_fma_f32 v118, v118, s64, -v53                            // 000000011264: D1CB0076 84D48176
	v_fma_f32 v119, v119, s64, -v53                            // 00000001126C: D1CB0077 84D48177
	v_fma_f32 v120, v120, s64, -v53                            // 000000011274: D1CB0078 84D48178
	v_fma_f32 v121, v121, s64, -v53                            // 00000001127C: D1CB0079 84D48179
	v_fma_f32 v122, v122, s64, -v53                            // 000000011284: D1CB007A 84D4817A
	v_fma_f32 v123, v123, s64, -v53                            // 00000001128C: D1CB007B 84D4817B
	v_fma_f32 v124, v124, s64, -v53                            // 000000011294: D1CB007C 84D4817C
	v_fma_f32 v125, v125, s64, -v53                            // 00000001129C: D1CB007D 84D4817D
	v_fma_f32 v126, v126, s64, -v53                            // 0000000112A4: D1CB007E 84D4817E
	v_fma_f32 v127, v127, s64, -v53                            // 0000000112AC: D1CB007F 84D4817F
	buffer_load_dwordx4 a[100:103], v35, s[20:23], 0 offen     // 0000000112B4: E05C1000 80856423
	v_exp_f32_e32 v112, v112                                   // 0000000112BC: 7EE04170
	v_exp_f32_e32 v113, v113                                   // 0000000112C0: 7EE24171
	v_exp_f32_e32 v114, v114                                   // 0000000112C4: 7EE44172
	v_exp_f32_e32 v115, v115                                   // 0000000112C8: 7EE64173
	v_exp_f32_e32 v116, v116                                   // 0000000112CC: 7EE84174
	v_exp_f32_e32 v117, v117                                   // 0000000112D0: 7EEA4175
	v_exp_f32_e32 v118, v118                                   // 0000000112D4: 7EEC4176
	v_exp_f32_e32 v119, v119                                   // 0000000112D8: 7EEE4177
	v_exp_f32_e32 v120, v120                                   // 0000000112DC: 7EF04178
	v_exp_f32_e32 v121, v121                                   // 0000000112E0: 7EF24179
	v_exp_f32_e32 v122, v122                                   // 0000000112E4: 7EF4417A
	v_exp_f32_e32 v123, v123                                   // 0000000112E8: 7EF6417B
	v_exp_f32_e32 v124, v124                                   // 0000000112EC: 7EF8417C
	v_exp_f32_e32 v125, v125                                   // 0000000112F0: 7EFA417D
	v_exp_f32_e32 v126, v126                                   // 0000000112F4: 7EFC417E
	v_exp_f32_e32 v127, v127                                   // 0000000112F8: 7EFE417F
	buffer_load_dwordx4 a[104:107], v36, s[20:23], 0 offen     // 0000000112FC: E05C1000 80856824
	v_mul_f32_dpp v240, v252, v112 quad_perm:[0,0,0,0] row_mask:0xf bank_mask:0xf// 000000011304: 0BE0E0FA FF0000FC
	v_mul_f32_dpp v241, v252, v113 quad_perm:[1,1,1,1] row_mask:0xf bank_mask:0xf// 00000001130C: 0BE2E2FA FF0055FC
	v_mul_f32_dpp v242, v252, v114 quad_perm:[2,2,2,2] row_mask:0xf bank_mask:0xf// 000000011314: 0BE4E4FA FF00AAFC
	v_mul_f32_dpp v243, v252, v115 quad_perm:[3,3,3,3] row_mask:0xf bank_mask:0xf// 00000001131C: 0BE6E6FA FF00FFFC
	v_mul_f32_dpp v244, v253, v116 quad_perm:[0,0,0,0] row_mask:0xf bank_mask:0xf// 000000011324: 0BE8E8FA FF0000FD
	v_mul_f32_dpp v245, v253, v117 quad_perm:[1,1,1,1] row_mask:0xf bank_mask:0xf// 00000001132C: 0BEAEAFA FF0055FD
	v_mul_f32_dpp v246, v253, v118 quad_perm:[2,2,2,2] row_mask:0xf bank_mask:0xf// 000000011334: 0BECECFA FF00AAFD
	v_mul_f32_dpp v247, v253, v119 quad_perm:[3,3,3,3] row_mask:0xf bank_mask:0xf// 00000001133C: 0BEEEEFA FF00FFFD
	v_mul_f32_dpp v248, v254, v120 quad_perm:[0,0,0,0] row_mask:0xf bank_mask:0xf// 000000011344: 0BF0F0FA FF0000FE
	v_mul_f32_dpp v249, v254, v121 quad_perm:[1,1,1,1] row_mask:0xf bank_mask:0xf// 00000001134C: 0BF2F2FA FF0055FE
	v_mul_f32_dpp v250, v254, v122 quad_perm:[2,2,2,2] row_mask:0xf bank_mask:0xf// 000000011354: 0BF4F4FA FF00AAFE
	v_mul_f32_dpp v251, v254, v123 quad_perm:[3,3,3,3] row_mask:0xf bank_mask:0xf// 00000001135C: 0BF6F6FA FF00FFFE
	v_mul_f32_dpp v252, v255, v124 quad_perm:[0,0,0,0] row_mask:0xf bank_mask:0xf// 000000011364: 0BF8F8FA FF0000FF
	v_mul_f32_dpp v253, v255, v125 quad_perm:[1,1,1,1] row_mask:0xf bank_mask:0xf// 00000001136C: 0BFAFAFA FF0055FF
	v_mul_f32_dpp v254, v255, v126 quad_perm:[2,2,2,2] row_mask:0xf bank_mask:0xf// 000000011374: 0BFCFCFA FF00AAFF
	v_mul_f32_dpp v255, v255, v127 quad_perm:[3,3,3,3] row_mask:0xf bank_mask:0xf// 00000001137C: 0BFEFEFA FF00FFFF
	v_mov_b32_e32 v48, 0x358637bd                              // 000000011384: 7E6002FF 358637BD
	v_max3_f32 v48, |v240|, |v241|, v48                        // 00000001138C: D1D30330 04C3E3F0
	v_max3_f32 v48, |v242|, |v243|, v48                        // 000000011394: D1D30330 04C3E7F2
	v_max3_f32 v48, |v244|, |v245|, v48                        // 00000001139C: D1D30330 04C3EBF4
	v_max3_f32 v48, |v246|, |v247|, v48                        // 0000000113A4: D1D30330 04C3EFF6
	v_max3_f32 v48, |v248|, |v249|, v48                        // 0000000113AC: D1D30330 04C3F3F8
	v_max3_f32 v48, |v250|, |v251|, v48                        // 0000000113B4: D1D30330 04C3F7FA
	v_max3_f32 v48, |v252|, |v253|, v48                        // 0000000113BC: D1D30330 04C3FBFC
	v_max3_f32 v48, |v254|, |v255|, v48                        // 0000000113C4: D1D30330 04C3FFFE
	buffer_load_dwordx4 a[108:111], v37, s[20:23], 0 offen     // 0000000113CC: E05C1000 80856C25
	ds_write_b32 v8, v48 offset:20992                          // 0000000113D4: D81A5200 00003008
	v_sub_f32_e32 v49, v11, v15                                // 0000000113DC: 04621F0B
	v_cndmask_b32_e64 v49, v49, 0, s[40:41]                    // 0000000113E0: D1000031 00A10131
	v_mov_b32_e32 v11, v15                                     // 0000000113E8: 7E16030F
	v_mul_f32_e32 v49, s64, v49                                // 0000000113EC: 0A626240
	v_exp_f32_e32 v49, v49                                     // 0000000113F0: 7E624131
	s_waitcnt lgkmcnt(0)                                       // 0000000113F4: BF8CC07F
	s_barrier                                                  // 0000000113F8: BF8A0000
	ds_read_b32 v64, v7 offset:20992                           // 0000000113FC: D86C5200 40000007
	ds_read_b32 v65, v7 offset:21056                           // 000000011404: D86C5240 41000007
	ds_read_b32 v66, v7 offset:21120                           // 00000001140C: D86C5280 42000007
	ds_read_b32 v67, v7 offset:21184                           // 000000011414: D86C52C0 43000007
	ds_read_b32 v68, v7 offset:21248                           // 00000001141C: D86C5300 44000007
	ds_read_b32 v69, v7 offset:21312                           // 000000011424: D86C5340 45000007
	ds_read_b32 v70, v7 offset:21376                           // 00000001142C: D86C5380 46000007
	ds_read_b32 v71, v7 offset:21440                           // 000000011434: D86C53C0 47000007
	ds_read_b32 v72, v7 offset:21504                           // 00000001143C: D86C5400 48000007
	ds_read_b32 v73, v7 offset:21568                           // 000000011444: D86C5440 49000007
	ds_read_b32 v74, v7 offset:21632                           // 00000001144C: D86C5480 4A000007
	ds_read_b32 v75, v7 offset:21696                           // 000000011454: D86C54C0 4B000007
	ds_read_b32 v76, v7 offset:21760                           // 00000001145C: D86C5500 4C000007
	ds_read_b32 v77, v7 offset:21824                           // 000000011464: D86C5540 4D000007
	ds_read_b32 v78, v7 offset:21888                           // 00000001146C: D86C5580 4E000007
	ds_read_b32 v79, v7 offset:21952                           // 000000011474: D86C55C0 4F000007
	v_mul_f32_e32 v38, v49, v38                                // 00000001147C: 0A4C4D31
	v_mov_b32_e32 v15, v112                                    // 000000011480: 7E1E0370
	v_add_f32_e32 v15, v113, v15                               // 000000011484: 021E1F71
	v_add_f32_e32 v15, v114, v15                               // 000000011488: 021E1F72
	v_add_f32_e32 v15, v115, v15                               // 00000001148C: 021E1F73
	v_add_f32_e32 v15, v116, v15                               // 000000011490: 021E1F74
	v_add_f32_e32 v15, v117, v15                               // 000000011494: 021E1F75
	v_add_f32_e32 v15, v118, v15                               // 000000011498: 021E1F76
	v_add_f32_e32 v15, v119, v15                               // 00000001149C: 021E1F77
	v_add_f32_e32 v15, v120, v15                               // 0000000114A0: 021E1F78
	v_add_f32_e32 v15, v121, v15                               // 0000000114A4: 021E1F79
	v_add_f32_e32 v15, v122, v15                               // 0000000114A8: 021E1F7A
	v_add_f32_e32 v15, v123, v15                               // 0000000114AC: 021E1F7B
	v_add_f32_e32 v15, v124, v15                               // 0000000114B0: 021E1F7C
	v_add_f32_e32 v15, v125, v15                               // 0000000114B4: 021E1F7D
	v_add_f32_e32 v15, v126, v15                               // 0000000114B8: 021E1F7E
	v_add_f32_e32 v15, v127, v15                               // 0000000114BC: 021E1F7F
	v_add_f32_e32 v38, v15, v38                                // 0000000114C0: 024C4D0F
	s_waitcnt lgkmcnt(0)                                       // 0000000114C4: BF8CC07F
	v_max3_f32 v48, |v64|, |v65|, v48                          // 0000000114C8: D1D30330 04C28340
	v_max3_f32 v48, |v66|, |v67|, v48                          // 0000000114D0: D1D30330 04C28742
	v_max3_f32 v48, |v68|, |v69|, v48                          // 0000000114D8: D1D30330 04C28B44
	v_max3_f32 v48, |v70|, |v71|, v48                          // 0000000114E0: D1D30330 04C28F46
	v_max3_f32 v48, |v72|, |v73|, v48                          // 0000000114E8: D1D30330 04C29348
	v_max3_f32 v48, |v74|, |v75|, v48                          // 0000000114F0: D1D30330 04C2974A
	v_max3_f32 v48, |v76|, |v77|, v48                          // 0000000114F8: D1D30330 04C29B4C
	v_max3_f32 v48, |v78|, |v79|, v48                          // 000000011500: D1D30330 04C29F4E
	s_nop 2                                                    // 000000011508: BF800002
	v_rcp_f32_e32 v48, v48                                     // 00000001150C: 7E604530
	s_nop 1                                                    // 000000011510: BF800001
	v_mul_f32_e32 v48, 0x43e00000, v48                         // 000000011514: 0A6060FF 43E00000
	v_mul_f32_e32 v112, v48, v240                              // 00000001151C: 0AE1E130
	v_mul_f32_e32 v113, v48, v241                              // 000000011520: 0AE3E330
	v_mul_f32_e32 v114, v48, v242                              // 000000011524: 0AE5E530
	v_mul_f32_e32 v115, v48, v243                              // 000000011528: 0AE7E730
	v_mul_f32_e32 v116, v48, v244                              // 00000001152C: 0AE9E930
	v_mul_f32_e32 v117, v48, v245                              // 000000011530: 0AEBEB30
	v_mul_f32_e32 v118, v48, v246                              // 000000011534: 0AEDED30
	v_mul_f32_e32 v119, v48, v247                              // 000000011538: 0AEFEF30
	v_mul_f32_e32 v120, v48, v248                              // 00000001153C: 0AF1F130
	v_mul_f32_e32 v121, v48, v249                              // 000000011540: 0AF3F330
	v_mul_f32_e32 v122, v48, v250                              // 000000011544: 0AF5F530
	v_mul_f32_e32 v123, v48, v251                              // 000000011548: 0AF7F730
	v_mul_f32_e32 v124, v48, v252                              // 00000001154C: 0AF9F930
	v_mul_f32_e32 v125, v48, v253                              // 000000011550: 0AFBFB30
	v_mul_f32_e32 v126, v48, v254                              // 000000011554: 0AFDFD30
	v_mul_f32_e32 v127, v48, v255                              // 000000011558: 0AFFFF30
	v_cvt_pk_fp8_f32 v112, v112, v113                          // 00000001155C: D2A20070 0002E370
	v_cvt_pk_fp8_f32 v112, v114, v115 op_sel:[0,0,1]           // 000000011564: D2A24070 0002E772
	v_cvt_pk_fp8_f32 v113, v116, v117                          // 00000001156C: D2A20071 0002EB74
	v_cvt_pk_fp8_f32 v113, v118, v119 op_sel:[0,0,1]           // 000000011574: D2A24071 0002EF76
	v_cvt_pk_fp8_f32 v114, v120, v121                          // 00000001157C: D2A20072 0002F378
	v_cvt_pk_fp8_f32 v114, v122, v123 op_sel:[0,0,1]           // 000000011584: D2A24072 0002F77A
	v_cvt_pk_fp8_f32 v115, v124, v125                          // 00000001158C: D2A20073 0002FB7C
	v_cvt_pk_fp8_f32 v115, v126, v127 op_sel:[0,0,1]           // 000000011594: D2A24073 0002FF7E
	ds_write_b32 v10, v112 offset:25088                        // 00000001159C: D81A6200 0000700A
	ds_write_b32 v10, v113 offset:26112                        // 0000000115A4: D81A6600 0000710A
	ds_write_b32 v10, v114 offset:27136                        // 0000000115AC: D81A6A00 0000720A
	ds_write_b32 v10, v115 offset:28160                        // 0000000115B4: D81A6E00 0000730A
	v_add_f32_e32 v208, v208, v176                             // 0000000115BC: 03A161D0
	v_add_f32_e32 v209, v209, v177                             // 0000000115C0: 03A363D1
	v_add_f32_e32 v210, v210, v178                             // 0000000115C4: 03A565D2
	v_add_f32_e32 v211, v211, v179                             // 0000000115C8: 03A767D3
	v_add_f32_e32 v212, v212, v180                             // 0000000115CC: 03A969D4
	v_add_f32_e32 v213, v213, v181                             // 0000000115D0: 03AB6BD5
	v_add_f32_e32 v214, v214, v182                             // 0000000115D4: 03AD6DD6
	v_add_f32_e32 v215, v215, v183                             // 0000000115D8: 03AF6FD7
	v_rcp_f32_e32 v44, v48                                     // 0000000115DC: 7E584530
	s_waitcnt lgkmcnt(0)                                       // 0000000115E0: BF8CC07F
	s_barrier                                                  // 0000000115E4: BF8A0000
	ds_read_b64 v[112:113], v9 offset:25088                    // 0000000115E8: D8EC6200 70000009
	ds_read_b64 v[114:115], v9 offset:25216                    // 0000000115F0: D8EC6280 72000009
	ds_read_b64 v[116:117], v9 offset:26112                    // 0000000115F8: D8EC6600 74000009
	ds_read_b64 v[118:119], v9 offset:26240                    // 000000011600: D8EC6680 76000009
	ds_read_b64 v[120:121], v9 offset:27136                    // 000000011608: D8EC6A00 78000009
	ds_read_b64 v[122:123], v9 offset:27264                    // 000000011610: D8EC6A80 7A000009
	ds_read_b64 v[124:125], v9 offset:28160                    // 000000011618: D8EC6E00 7C000009
	ds_read_b64 v[126:127], v9 offset:28288                    // 000000011620: D8EC6E80 7E000009
	v_mov_b32_dpp v64, v42 row_shr:4 row_mask:0xf bank_mask:0xf// 000000011628: 7E8002FA FF01142A
	v_mov_b32_dpp v65, v42 row_shl:4 row_mask:0xf bank_mask:0xf// 000000011630: 7E8202FA FF01042A
	v_cndmask_b32_e64 v248, v42, v64, s[44:45]                 // 000000011638: D10000F8 00B2812A
	v_cndmask_b32_e64 v249, v65, v42, s[44:45]                 // 000000011640: D10000F9 00B25541
	v_mov_b32_dpp v64, v248 row_shr:8 row_mask:0xf bank_mask:0xf// 000000011648: 7E8002FA FF0118F8
	v_mov_b32_dpp v65, v248 row_shl:8 row_mask:0xf bank_mask:0xf// 000000011650: 7E8202FA FF0108F8
	v_mov_b32_dpp v66, v249 row_shr:8 row_mask:0xf bank_mask:0xf// 000000011658: 7E8402FA FF0118F9
	v_mov_b32_dpp v67, v249 row_shl:8 row_mask:0xf bank_mask:0xf// 000000011660: 7E8602FA FF0108F9
	v_mov_b32_e32 v68, v248                                    // 000000011668: 7E8803F8
	v_mov_b32_e32 v69, v249                                    // 00000001166C: 7E8A03F9
	v_cndmask_b32_e64 v248, v68, v64, s[42:43]                 // 000000011670: D10000F8 00AA8144
	v_cndmask_b32_e64 v250, v68, v65, s[78:79]                 // 000000011678: D10000FA 013A8344
	v_cndmask_b32_e64 v249, v69, v66, s[42:43]                 // 000000011680: D10000F9 00AA8545
	v_cndmask_b32_e64 v251, v69, v67, s[78:79]                 // 000000011688: D10000FB 013A8745
	v_mov_b32_dpp v64, v57 row_shr:4 row_mask:0xf bank_mask:0xf// 000000011690: 7E8002FA FF011439
	v_mov_b32_dpp v65, v57 row_shl:4 row_mask:0xf bank_mask:0xf// 000000011698: 7E8202FA FF010439
	v_cndmask_b32_e64 v252, v57, v64, s[44:45]                 // 0000000116A0: D10000FC 00B28139
	v_cndmask_b32_e64 v253, v65, v57, s[44:45]                 // 0000000116A8: D10000FD 00B27341
	v_mov_b32_dpp v64, v252 row_shr:8 row_mask:0xf bank_mask:0xf// 0000000116B0: 7E8002FA FF0118FC
	v_mov_b32_dpp v65, v252 row_shl:8 row_mask:0xf bank_mask:0xf// 0000000116B8: 7E8202FA FF0108FC
	v_mov_b32_dpp v66, v253 row_shr:8 row_mask:0xf bank_mask:0xf// 0000000116C0: 7E8402FA FF0118FD
	v_mov_b32_dpp v67, v253 row_shl:8 row_mask:0xf bank_mask:0xf// 0000000116C8: 7E8602FA FF0108FD
	v_mov_b32_e32 v68, v252                                    // 0000000116D0: 7E8803FC
	v_mov_b32_e32 v69, v253                                    // 0000000116D4: 7E8A03FD
	v_cndmask_b32_e64 v252, v68, v64, s[42:43]                 // 0000000116D8: D10000FC 00AA8144
	v_cndmask_b32_e64 v254, v68, v65, s[78:79]                 // 0000000116E0: D10000FE 013A8344
	v_cndmask_b32_e64 v253, v69, v66, s[42:43]                 // 0000000116E8: D10000FD 00AA8545
	v_cndmask_b32_e64 v255, v69, v67, s[78:79]                 // 0000000116F0: D10000FF 013A8745
	v_mul_f32_e32 v128, v19, v128                              // 0000000116F8: 0B010113
	v_mul_f32_e32 v129, v19, v129                              // 0000000116FC: 0B030313
	v_mul_f32_e32 v130, v19, v130                              // 000000011700: 0B050513
	v_mul_f32_e32 v131, v19, v131                              // 000000011704: 0B070713
	v_mul_f32_e32 v132, v19, v132                              // 000000011708: 0B090913
	v_mul_f32_e32 v133, v19, v133                              // 00000001170C: 0B0B0B13
	v_mul_f32_e32 v134, v19, v134                              // 000000011710: 0B0D0D13
	v_mul_f32_e32 v135, v19, v135                              // 000000011714: 0B0F0F13
	v_mul_f32_e32 v136, v19, v136                              // 000000011718: 0B111113
	v_mul_f32_e32 v137, v19, v137                              // 00000001171C: 0B131313
	v_mul_f32_e32 v138, v19, v138                              // 000000011720: 0B151513
	v_mul_f32_e32 v139, v19, v139                              // 000000011724: 0B171713
	v_mul_f32_e32 v140, v19, v140                              // 000000011728: 0B191913
	v_mul_f32_e32 v141, v19, v141                              // 00000001172C: 0B1B1B13
	v_mul_f32_e32 v142, v19, v142                              // 000000011730: 0B1D1D13
	v_mul_f32_e32 v143, v19, v143                              // 000000011734: 0B1F1F13
	v_mul_f32_dpp v128, v248, v128 quad_perm:[0,0,0,0] row_mask:0xf bank_mask:0xf// 000000011738: 0B0100FA FF0000F8
	v_mul_f32_dpp v129, v248, v129 quad_perm:[1,1,1,1] row_mask:0xf bank_mask:0xf// 000000011740: 0B0302FA FF0055F8
	v_mul_f32_dpp v130, v248, v130 quad_perm:[2,2,2,2] row_mask:0xf bank_mask:0xf// 000000011748: 0B0504FA FF00AAF8
	v_mul_f32_dpp v131, v248, v131 quad_perm:[3,3,3,3] row_mask:0xf bank_mask:0xf// 000000011750: 0B0706FA FF00FFF8
	v_mul_f32_dpp v132, v249, v132 quad_perm:[0,0,0,0] row_mask:0xf bank_mask:0xf// 000000011758: 0B0908FA FF0000F9
	v_mul_f32_dpp v133, v249, v133 quad_perm:[1,1,1,1] row_mask:0xf bank_mask:0xf// 000000011760: 0B0B0AFA FF0055F9
	v_mul_f32_dpp v134, v249, v134 quad_perm:[2,2,2,2] row_mask:0xf bank_mask:0xf// 000000011768: 0B0D0CFA FF00AAF9
	v_mul_f32_dpp v135, v249, v135 quad_perm:[3,3,3,3] row_mask:0xf bank_mask:0xf// 000000011770: 0B0F0EFA FF00FFF9
	v_mul_f32_dpp v136, v250, v136 quad_perm:[0,0,0,0] row_mask:0xf bank_mask:0xf// 000000011778: 0B1110FA FF0000FA
	v_mul_f32_dpp v137, v250, v137 quad_perm:[1,1,1,1] row_mask:0xf bank_mask:0xf// 000000011780: 0B1312FA FF0055FA
	v_mul_f32_dpp v138, v250, v138 quad_perm:[2,2,2,2] row_mask:0xf bank_mask:0xf// 000000011788: 0B1514FA FF00AAFA
	v_mul_f32_dpp v139, v250, v139 quad_perm:[3,3,3,3] row_mask:0xf bank_mask:0xf// 000000011790: 0B1716FA FF00FFFA
	v_mul_f32_dpp v140, v251, v140 quad_perm:[0,0,0,0] row_mask:0xf bank_mask:0xf// 000000011798: 0B1918FA FF0000FB
	v_mul_f32_dpp v141, v251, v141 quad_perm:[1,1,1,1] row_mask:0xf bank_mask:0xf// 0000000117A0: 0B1B1AFA FF0055FB
	v_mul_f32_dpp v142, v251, v142 quad_perm:[2,2,2,2] row_mask:0xf bank_mask:0xf// 0000000117A8: 0B1D1CFA FF00AAFB
	v_mul_f32_dpp v143, v251, v143 quad_perm:[3,3,3,3] row_mask:0xf bank_mask:0xf// 0000000117B0: 0B1F1EFA FF00FFFB
	s_cmp_le_i32 s90, s89                                      // 0000000117B8: BF05595A
	s_cbranch_scc1 label_3DE1                                  // 0000000117BC: BF850071
	v_mov_b32_e32 v66, 0xff800000                              // 0000000117C0: 7E8402FF FF800000
	s_mov_b32 s60, s90                                         // 0000000117C8: BEBC005A
	s_add_u32 s61, s89, 0xff                                   // 0000000117CC: 803DFF59 000000FF
	v_mov_b32_e32 v64, s61                                     // 0000000117D4: 7E80023D
	v_lshrrev_b32_e32 v240, 4, v0                              // 0000000117D8: 21E00084
	v_mul_i32_i24_e32 v240, 4, v240                            // 0000000117DC: 0DE1E084
	v_add_u32_e32 v240, s60, v240                              // 0000000117E0: 69E1E03C
	s_mov_b32 s61, 1                                           // 0000000117E4: BEBD0081
	s_mul_i32 s60, 16, s7                                      // 0000000117E8: 923C0790
	v_sub_u32_e64 v240, v240, s61                              // 0000000117EC: D13500F0 00007BF0
	v_add_u32_e32 v240, s60, v240                              // 0000000117F4: 69E1E03C
	v_add_u32_e32 v241, 1, v240                                // 0000000117F8: 69E3E081
	v_add_u32_e32 v242, 2, v240                                // 0000000117FC: 69E5E082
	v_add_u32_e32 v243, 3, v240                                // 000000011800: 69E7E083
	v_cmp_le_u32_e64 s[40:41], v240, v64                       // 000000011804: D0CB0028 000281F0
	v_add_u32_e32 v240, 64, v240                               // 00000001180C: 69E1E0C0
	s_nop 0                                                    // 000000011810: BF800000
	v_cndmask_b32_e64 v128, v66, v128, s[40:41]                // 000000011814: D1000080 00A30142
	v_cmp_le_u32_e64 s[40:41], v241, v64                       // 00000001181C: D0CB0028 000281F1
	v_add_u32_e32 v241, 64, v241                               // 000000011824: 69E3E2C0
	s_nop 0                                                    // 000000011828: BF800000
	v_cndmask_b32_e64 v129, v66, v129, s[40:41]                // 00000001182C: D1000081 00A30342
	v_cmp_le_u32_e64 s[40:41], v242, v64                       // 000000011834: D0CB0028 000281F2
	v_add_u32_e32 v242, 64, v242                               // 00000001183C: 69E5E4C0
	s_nop 0                                                    // 000000011840: BF800000
	v_cndmask_b32_e64 v130, v66, v130, s[40:41]                // 000000011844: D1000082 00A30542
	v_cmp_le_u32_e64 s[40:41], v243, v64                       // 00000001184C: D0CB0028 000281F3
	v_add_u32_e32 v243, 64, v243                               // 000000011854: 69E7E6C0
	s_nop 0                                                    // 000000011858: BF800000
	v_cndmask_b32_e64 v131, v66, v131, s[40:41]                // 00000001185C: D1000083 00A30742
	v_cmp_le_u32_e64 s[40:41], v240, v64                       // 000000011864: D0CB0028 000281F0
	v_add_u32_e32 v240, 64, v240                               // 00000001186C: 69E1E0C0
	s_nop 0                                                    // 000000011870: BF800000
	v_cndmask_b32_e64 v132, v66, v132, s[40:41]                // 000000011874: D1000084 00A30942
	v_cmp_le_u32_e64 s[40:41], v241, v64                       // 00000001187C: D0CB0028 000281F1
	v_add_u32_e32 v241, 64, v241                               // 000000011884: 69E3E2C0
	s_nop 0                                                    // 000000011888: BF800000
	v_cndmask_b32_e64 v133, v66, v133, s[40:41]                // 00000001188C: D1000085 00A30B42
	v_cmp_le_u32_e64 s[40:41], v242, v64                       // 000000011894: D0CB0028 000281F2
	v_add_u32_e32 v242, 64, v242                               // 00000001189C: 69E5E4C0
	s_nop 0                                                    // 0000000118A0: BF800000
	v_cndmask_b32_e64 v134, v66, v134, s[40:41]                // 0000000118A4: D1000086 00A30D42
	v_cmp_le_u32_e64 s[40:41], v243, v64                       // 0000000118AC: D0CB0028 000281F3
	v_add_u32_e32 v243, 64, v243                               // 0000000118B4: 69E7E6C0
	s_nop 0                                                    // 0000000118B8: BF800000
	v_cndmask_b32_e64 v135, v66, v135, s[40:41]                // 0000000118BC: D1000087 00A30F42
	v_cmp_le_u32_e64 s[40:41], v240, v64                       // 0000000118C4: D0CB0028 000281F0
	v_add_u32_e32 v240, 64, v240                               // 0000000118CC: 69E1E0C0
	s_nop 0                                                    // 0000000118D0: BF800000
	v_cndmask_b32_e64 v136, v66, v136, s[40:41]                // 0000000118D4: D1000088 00A31142
	v_cmp_le_u32_e64 s[40:41], v241, v64                       // 0000000118DC: D0CB0028 000281F1
	v_add_u32_e32 v241, 64, v241                               // 0000000118E4: 69E3E2C0
	s_nop 0                                                    // 0000000118E8: BF800000
	v_cndmask_b32_e64 v137, v66, v137, s[40:41]                // 0000000118EC: D1000089 00A31342
	v_cmp_le_u32_e64 s[40:41], v242, v64                       // 0000000118F4: D0CB0028 000281F2
	v_add_u32_e32 v242, 64, v242                               // 0000000118FC: 69E5E4C0
	s_nop 0                                                    // 000000011900: BF800000
	v_cndmask_b32_e64 v138, v66, v138, s[40:41]                // 000000011904: D100008A 00A31542
	v_cmp_le_u32_e64 s[40:41], v243, v64                       // 00000001190C: D0CB0028 000281F3
	v_add_u32_e32 v243, 64, v243                               // 000000011914: 69E7E6C0
	s_nop 0                                                    // 000000011918: BF800000
	v_cndmask_b32_e64 v139, v66, v139, s[40:41]                // 00000001191C: D100008B 00A31742
	v_cmp_le_u32_e64 s[40:41], v240, v64                       // 000000011924: D0CB0028 000281F0
	v_add_u32_e32 v240, 64, v240                               // 00000001192C: 69E1E0C0
	s_nop 0                                                    // 000000011930: BF800000
	v_cndmask_b32_e64 v140, v66, v140, s[40:41]                // 000000011934: D100008C 00A31942
	v_cmp_le_u32_e64 s[40:41], v241, v64                       // 00000001193C: D0CB0028 000281F1
	v_add_u32_e32 v241, 64, v241                               // 000000011944: 69E3E2C0
	s_nop 0                                                    // 000000011948: BF800000
	v_cndmask_b32_e64 v141, v66, v141, s[40:41]                // 00000001194C: D100008D 00A31B42
	v_cmp_le_u32_e64 s[40:41], v242, v64                       // 000000011954: D0CB0028 000281F2
	v_add_u32_e32 v242, 64, v242                               // 00000001195C: 69E5E4C0
	s_nop 0                                                    // 000000011960: BF800000
	v_cndmask_b32_e64 v142, v66, v142, s[40:41]                // 000000011964: D100008E 00A31D42
	v_cmp_le_u32_e64 s[40:41], v243, v64                       // 00000001196C: D0CB0028 000281F3
	v_add_u32_e32 v243, 64, v243                               // 000000011974: 69E7E6C0
	s_nop 0                                                    // 000000011978: BF800000
	v_cndmask_b32_e64 v143, v66, v143, s[40:41]                // 00000001197C: D100008F 00A31F42

0000000000011984 <label_3DE1>:
	v_mov_b32_e32 v48, v128                                    // 000000011984: 7E600380
	v_max3_f32 v48, v128, v129, v48                            // 000000011988: D1D30030 04C30380
	v_max3_f32 v48, v130, v131, v48                            // 000000011990: D1D30030 04C30782
	v_max3_f32 v48, v132, v133, v48                            // 000000011998: D1D30030 04C30B84
	v_max3_f32 v48, v134, v135, v48                            // 0000000119A0: D1D30030 04C30F86
	v_max3_f32 v48, v136, v137, v48                            // 0000000119A8: D1D30030 04C31388
	v_max3_f32 v48, v138, v139, v48                            // 0000000119B0: D1D30030 04C3178A
	v_max3_f32 v48, v140, v141, v48                            // 0000000119B8: D1D30030 04C31B8C
	v_max3_f32 v48, v142, v143, v48                            // 0000000119C0: D1D30030 04C31F8E
	ds_write_b32 v8, v48 offset:16896                          // 0000000119C8: D81A4200 00003008
	v_mul_f32_e32 v216, v50, v216                              // 0000000119D0: 0BB1B132
	v_mul_f32_e32 v217, v50, v217                              // 0000000119D4: 0BB3B332
	v_mul_f32_e32 v218, v50, v218                              // 0000000119D8: 0BB5B532
	v_mul_f32_e32 v219, v50, v219                              // 0000000119DC: 0BB7B732
	v_mul_f32_e32 v220, v50, v220                              // 0000000119E0: 0BB9B932
	v_mul_f32_e32 v221, v50, v221                              // 0000000119E4: 0BBBBB32
	v_mul_f32_e32 v222, v50, v222                              // 0000000119E8: 0BBDBD32
	v_mul_f32_e32 v223, v50, v223                              // 0000000119EC: 0BBFBF32
	s_waitcnt lgkmcnt(0)                                       // 0000000119F0: BF8CC07F
	s_barrier                                                  // 0000000119F4: BF8A0000
	ds_read_b32 v64, v7 offset:16896                           // 0000000119F8: D86C4200 40000007
	ds_read_b32 v65, v7 offset:16960                           // 000000011A00: D86C4240 41000007
	ds_read_b32 v66, v7 offset:17024                           // 000000011A08: D86C4280 42000007
	ds_read_b32 v67, v7 offset:17088                           // 000000011A10: D86C42C0 43000007
	ds_read_b32 v68, v7 offset:17152                           // 000000011A18: D86C4300 44000007
	ds_read_b32 v69, v7 offset:17216                           // 000000011A20: D86C4340 45000007
	ds_read_b32 v70, v7 offset:17280                           // 000000011A28: D86C4380 46000007
	ds_read_b32 v71, v7 offset:17344                           // 000000011A30: D86C43C0 47000007
	ds_read_b32 v72, v7 offset:17408                           // 000000011A38: D86C4400 48000007
	ds_read_b32 v73, v7 offset:17472                           // 000000011A40: D86C4440 49000007
	ds_read_b32 v74, v7 offset:17536                           // 000000011A48: D86C4480 4A000007
	ds_read_b32 v75, v7 offset:17600                           // 000000011A50: D86C44C0 4B000007
	ds_read_b32 v76, v7 offset:17664                           // 000000011A58: D86C4500 4C000007
	ds_read_b32 v77, v7 offset:17728                           // 000000011A60: D86C4540 4D000007
	ds_read_b32 v78, v7 offset:17792                           // 000000011A68: D86C4580 4E000007
	ds_read_b32 v79, v7 offset:17856                           // 000000011A70: D86C45C0 4F000007
	v_mul_f32_e32 v184, v45, v184                              // 000000011A78: 0B71712D
	v_mul_f32_e32 v185, v45, v185                              // 000000011A7C: 0B73732D
	v_mul_f32_e32 v186, v45, v186                              // 000000011A80: 0B75752D
	v_mul_f32_e32 v187, v45, v187                              // 000000011A84: 0B77772D
	v_mul_f32_e32 v188, v45, v188                              // 000000011A88: 0B79792D
	v_mul_f32_e32 v189, v45, v189                              // 000000011A8C: 0B7B7B2D
	v_mul_f32_e32 v190, v45, v190                              // 000000011A90: 0B7D7D2D
	v_mul_f32_e32 v191, v45, v191                              // 000000011A94: 0B7F7F2D
	s_waitcnt lgkmcnt(0)                                       // 000000011A98: BF8CC07F
	v_max3_f32 v48, v64, v65, v48                              // 000000011A9C: D1D30030 04C28340
	v_max3_f32 v48, v66, v67, v48                              // 000000011AA4: D1D30030 04C28742
	v_max3_f32 v48, v68, v69, v48                              // 000000011AAC: D1D30030 04C28B44
	v_max3_f32 v48, v70, v71, v48                              // 000000011AB4: D1D30030 04C28F46
	v_max3_f32 v48, v72, v73, v48                              // 000000011ABC: D1D30030 04C29348
	v_max3_f32 v48, v74, v75, v48                              // 000000011AC4: D1D30030 04C2974A
	v_max3_f32 v48, v76, v77, v48                              // 000000011ACC: D1D30030 04C29B4C
	v_max3_f32 v48, v78, v79, v48                              // 000000011AD4: D1D30030 04C29F4E
	v_mov_b32_e32 v64, 0xff800000                              // 000000011ADC: 7E8002FF FF800000
	v_cmp_eq_u32_e64 s[40:41], v64, v12                        // 000000011AE4: D0CA0028 00021940
	s_nop 1                                                    // 000000011AEC: BF800001
	v_max_f32_e32 v15, v48, v12                                // 000000011AF0: 161E1930
	v_mul_f32_e32 v53, s64, v15                                // 000000011AF4: 0A6A1E40
	v_fma_f32 v128, v128, s64, -v53                            // 000000011AF8: D1CB0080 84D48180
	v_fma_f32 v129, v129, s64, -v53                            // 000000011B00: D1CB0081 84D48181
	v_fma_f32 v130, v130, s64, -v53                            // 000000011B08: D1CB0082 84D48182
	v_fma_f32 v131, v131, s64, -v53                            // 000000011B10: D1CB0083 84D48183
	v_fma_f32 v132, v132, s64, -v53                            // 000000011B18: D1CB0084 84D48184
	v_fma_f32 v133, v133, s64, -v53                            // 000000011B20: D1CB0085 84D48185
	v_fma_f32 v134, v134, s64, -v53                            // 000000011B28: D1CB0086 84D48186
	v_fma_f32 v135, v135, s64, -v53                            // 000000011B30: D1CB0087 84D48187
	v_fma_f32 v136, v136, s64, -v53                            // 000000011B38: D1CB0088 84D48188
	v_fma_f32 v137, v137, s64, -v53                            // 000000011B40: D1CB0089 84D48189
	v_fma_f32 v138, v138, s64, -v53                            // 000000011B48: D1CB008A 84D4818A
	v_fma_f32 v139, v139, s64, -v53                            // 000000011B50: D1CB008B 84D4818B
	v_fma_f32 v140, v140, s64, -v53                            // 000000011B58: D1CB008C 84D4818C
	v_fma_f32 v141, v141, s64, -v53                            // 000000011B60: D1CB008D 84D4818D
	v_fma_f32 v142, v142, s64, -v53                            // 000000011B68: D1CB008E 84D4818E
	v_fma_f32 v143, v143, s64, -v53                            // 000000011B70: D1CB008F 84D4818F
	v_exp_f32_e32 v128, v128                                   // 000000011B78: 7F004180
	v_exp_f32_e32 v129, v129                                   // 000000011B7C: 7F024181
	v_exp_f32_e32 v130, v130                                   // 000000011B80: 7F044182
	v_exp_f32_e32 v131, v131                                   // 000000011B84: 7F064183
	v_exp_f32_e32 v132, v132                                   // 000000011B88: 7F084184
	v_exp_f32_e32 v133, v133                                   // 000000011B8C: 7F0A4185
	v_exp_f32_e32 v134, v134                                   // 000000011B90: 7F0C4186
	v_exp_f32_e32 v135, v135                                   // 000000011B94: 7F0E4187
	v_exp_f32_e32 v136, v136                                   // 000000011B98: 7F104188
	v_exp_f32_e32 v137, v137                                   // 000000011B9C: 7F124189
	v_exp_f32_e32 v138, v138                                   // 000000011BA0: 7F14418A
	v_exp_f32_e32 v139, v139                                   // 000000011BA4: 7F16418B
	v_exp_f32_e32 v140, v140                                   // 000000011BA8: 7F18418C
	v_exp_f32_e32 v141, v141                                   // 000000011BAC: 7F1A418D
	v_exp_f32_e32 v142, v142                                   // 000000011BB0: 7F1C418E
	v_exp_f32_e32 v143, v143                                   // 000000011BB4: 7F1E418F
	v_mul_f32_dpp v240, v252, v128 quad_perm:[0,0,0,0] row_mask:0xf bank_mask:0xf// 000000011BB8: 0BE100FA FF0000FC
	v_mul_f32_dpp v241, v252, v129 quad_perm:[1,1,1,1] row_mask:0xf bank_mask:0xf// 000000011BC0: 0BE302FA FF0055FC
	v_mul_f32_dpp v242, v252, v130 quad_perm:[2,2,2,2] row_mask:0xf bank_mask:0xf// 000000011BC8: 0BE504FA FF00AAFC
	v_mul_f32_dpp v243, v252, v131 quad_perm:[3,3,3,3] row_mask:0xf bank_mask:0xf// 000000011BD0: 0BE706FA FF00FFFC
	v_mul_f32_dpp v244, v253, v132 quad_perm:[0,0,0,0] row_mask:0xf bank_mask:0xf// 000000011BD8: 0BE908FA FF0000FD
	v_mul_f32_dpp v245, v253, v133 quad_perm:[1,1,1,1] row_mask:0xf bank_mask:0xf// 000000011BE0: 0BEB0AFA FF0055FD
	v_mul_f32_dpp v246, v253, v134 quad_perm:[2,2,2,2] row_mask:0xf bank_mask:0xf// 000000011BE8: 0BED0CFA FF00AAFD
	v_mul_f32_dpp v247, v253, v135 quad_perm:[3,3,3,3] row_mask:0xf bank_mask:0xf// 000000011BF0: 0BEF0EFA FF00FFFD
	v_mul_f32_dpp v248, v254, v136 quad_perm:[0,0,0,0] row_mask:0xf bank_mask:0xf// 000000011BF8: 0BF110FA FF0000FE
	v_mul_f32_dpp v249, v254, v137 quad_perm:[1,1,1,1] row_mask:0xf bank_mask:0xf// 000000011C00: 0BF312FA FF0055FE
	v_mul_f32_dpp v250, v254, v138 quad_perm:[2,2,2,2] row_mask:0xf bank_mask:0xf// 000000011C08: 0BF514FA FF00AAFE
	v_mul_f32_dpp v251, v254, v139 quad_perm:[3,3,3,3] row_mask:0xf bank_mask:0xf// 000000011C10: 0BF716FA FF00FFFE
	v_mul_f32_dpp v252, v255, v140 quad_perm:[0,0,0,0] row_mask:0xf bank_mask:0xf// 000000011C18: 0BF918FA FF0000FF
	v_mul_f32_dpp v253, v255, v141 quad_perm:[1,1,1,1] row_mask:0xf bank_mask:0xf// 000000011C20: 0BFB1AFA FF0055FF
	v_mul_f32_dpp v254, v255, v142 quad_perm:[2,2,2,2] row_mask:0xf bank_mask:0xf// 000000011C28: 0BFD1CFA FF00AAFF
	v_mul_f32_dpp v255, v255, v143 quad_perm:[3,3,3,3] row_mask:0xf bank_mask:0xf// 000000011C30: 0BFF1EFA FF00FFFF
	v_mov_b32_e32 v48, 0x358637bd                              // 000000011C38: 7E6002FF 358637BD
	v_max3_f32 v48, |v240|, |v241|, v48                        // 000000011C40: D1D30330 04C3E3F0
	v_max3_f32 v48, |v242|, |v243|, v48                        // 000000011C48: D1D30330 04C3E7F2
	v_max3_f32 v48, |v244|, |v245|, v48                        // 000000011C50: D1D30330 04C3EBF4
	v_max3_f32 v48, |v246|, |v247|, v48                        // 000000011C58: D1D30330 04C3EFF6
	v_max3_f32 v48, |v248|, |v249|, v48                        // 000000011C60: D1D30330 04C3F3F8
	v_max3_f32 v48, |v250|, |v251|, v48                        // 000000011C68: D1D30330 04C3F7FA
	v_max3_f32 v48, |v252|, |v253|, v48                        // 000000011C70: D1D30330 04C3FBFC
	v_max3_f32 v48, |v254|, |v255|, v48                        // 000000011C78: D1D30330 04C3FFFE
	ds_write_b32 v8, v48 offset:20992                          // 000000011C80: D81A5200 00003008
	v_sub_f32_e32 v50, v12, v15                                // 000000011C88: 04641F0C
	v_cndmask_b32_e64 v50, v50, 0, s[40:41]                    // 000000011C8C: D1000032 00A10132
	v_mov_b32_e32 v12, v15                                     // 000000011C94: 7E18030F
	v_mul_f32_e32 v50, s64, v50                                // 000000011C98: 0A646440
	v_exp_f32_e32 v50, v50                                     // 000000011C9C: 7E644132
	s_waitcnt lgkmcnt(0)                                       // 000000011CA0: BF8CC07F
	s_barrier                                                  // 000000011CA4: BF8A0000
	ds_read_b32 v64, v7 offset:20992                           // 000000011CA8: D86C5200 40000007
	ds_read_b32 v65, v7 offset:21056                           // 000000011CB0: D86C5240 41000007
	ds_read_b32 v66, v7 offset:21120                           // 000000011CB8: D86C5280 42000007
	ds_read_b32 v67, v7 offset:21184                           // 000000011CC0: D86C52C0 43000007
	ds_read_b32 v68, v7 offset:21248                           // 000000011CC8: D86C5300 44000007
	ds_read_b32 v69, v7 offset:21312                           // 000000011CD0: D86C5340 45000007
	ds_read_b32 v70, v7 offset:21376                           // 000000011CD8: D86C5380 46000007
	ds_read_b32 v71, v7 offset:21440                           // 000000011CE0: D86C53C0 47000007
	ds_read_b32 v72, v7 offset:21504                           // 000000011CE8: D86C5400 48000007
	ds_read_b32 v73, v7 offset:21568                           // 000000011CF0: D86C5440 49000007
	ds_read_b32 v74, v7 offset:21632                           // 000000011CF8: D86C5480 4A000007
	ds_read_b32 v75, v7 offset:21696                           // 000000011D00: D86C54C0 4B000007
	ds_read_b32 v76, v7 offset:21760                           // 000000011D08: D86C5500 4C000007
	ds_read_b32 v77, v7 offset:21824                           // 000000011D10: D86C5540 4D000007
	ds_read_b32 v78, v7 offset:21888                           // 000000011D18: D86C5580 4E000007
	ds_read_b32 v79, v7 offset:21952                           // 000000011D20: D86C55C0 4F000007
	v_mul_f32_e32 v39, v50, v39                                // 000000011D28: 0A4E4F32
	v_mov_b32_e32 v15, v128                                    // 000000011D2C: 7E1E0380
	v_add_f32_e32 v15, v129, v15                               // 000000011D30: 021E1F81
	v_add_f32_e32 v15, v130, v15                               // 000000011D34: 021E1F82
	v_add_f32_e32 v15, v131, v15                               // 000000011D38: 021E1F83
	v_add_f32_e32 v15, v132, v15                               // 000000011D3C: 021E1F84
	v_add_f32_e32 v15, v133, v15                               // 000000011D40: 021E1F85
	v_add_f32_e32 v15, v134, v15                               // 000000011D44: 021E1F86
	v_add_f32_e32 v15, v135, v15                               // 000000011D48: 021E1F87
	v_add_f32_e32 v15, v136, v15                               // 000000011D4C: 021E1F88
	v_add_f32_e32 v15, v137, v15                               // 000000011D50: 021E1F89
	v_add_f32_e32 v15, v138, v15                               // 000000011D54: 021E1F8A
	v_add_f32_e32 v15, v139, v15                               // 000000011D58: 021E1F8B
	v_add_f32_e32 v15, v140, v15                               // 000000011D5C: 021E1F8C
	v_add_f32_e32 v15, v141, v15                               // 000000011D60: 021E1F8D
	v_add_f32_e32 v15, v142, v15                               // 000000011D64: 021E1F8E
	v_add_f32_e32 v15, v143, v15                               // 000000011D68: 021E1F8F
	v_add_f32_e32 v39, v15, v39                                // 000000011D6C: 024E4F0F
	s_waitcnt lgkmcnt(0)                                       // 000000011D70: BF8CC07F
	v_max3_f32 v48, |v64|, |v65|, v48                          // 000000011D74: D1D30330 04C28340
	v_max3_f32 v48, |v66|, |v67|, v48                          // 000000011D7C: D1D30330 04C28742
	v_max3_f32 v48, |v68|, |v69|, v48                          // 000000011D84: D1D30330 04C28B44
	v_max3_f32 v48, |v70|, |v71|, v48                          // 000000011D8C: D1D30330 04C28F46
	v_max3_f32 v48, |v72|, |v73|, v48                          // 000000011D94: D1D30330 04C29348
	v_max3_f32 v48, |v74|, |v75|, v48                          // 000000011D9C: D1D30330 04C2974A
	v_max3_f32 v48, |v76|, |v77|, v48                          // 000000011DA4: D1D30330 04C29B4C
	v_max3_f32 v48, |v78|, |v79|, v48                          // 000000011DAC: D1D30330 04C29F4E
	s_nop 2                                                    // 000000011DB4: BF800002
	v_rcp_f32_e32 v48, v48                                     // 000000011DB8: 7E604530
	s_nop 1                                                    // 000000011DBC: BF800001
	v_mul_f32_e32 v48, 0x43e00000, v48                         // 000000011DC0: 0A6060FF 43E00000
	v_mul_f32_e32 v128, v48, v240                              // 000000011DC8: 0B01E130
	v_mul_f32_e32 v129, v48, v241                              // 000000011DCC: 0B03E330
	v_mul_f32_e32 v130, v48, v242                              // 000000011DD0: 0B05E530
	v_mul_f32_e32 v131, v48, v243                              // 000000011DD4: 0B07E730
	v_mul_f32_e32 v132, v48, v244                              // 000000011DD8: 0B09E930
	v_mul_f32_e32 v133, v48, v245                              // 000000011DDC: 0B0BEB30
	v_mul_f32_e32 v134, v48, v246                              // 000000011DE0: 0B0DED30
	v_mul_f32_e32 v135, v48, v247                              // 000000011DE4: 0B0FEF30
	v_mul_f32_e32 v136, v48, v248                              // 000000011DE8: 0B11F130
	v_mul_f32_e32 v137, v48, v249                              // 000000011DEC: 0B13F330
	v_mul_f32_e32 v138, v48, v250                              // 000000011DF0: 0B15F530
	v_mul_f32_e32 v139, v48, v251                              // 000000011DF4: 0B17F730
	v_mul_f32_e32 v140, v48, v252                              // 000000011DF8: 0B19F930
	v_mul_f32_e32 v141, v48, v253                              // 000000011DFC: 0B1BFB30
	v_mul_f32_e32 v142, v48, v254                              // 000000011E00: 0B1DFD30
	v_mul_f32_e32 v143, v48, v255                              // 000000011E04: 0B1FFF30
	v_cvt_pk_fp8_f32 v128, v128, v129                          // 000000011E08: D2A20080 00030380
	v_cvt_pk_fp8_f32 v128, v130, v131 op_sel:[0,0,1]           // 000000011E10: D2A24080 00030782
	v_cvt_pk_fp8_f32 v129, v132, v133                          // 000000011E18: D2A20081 00030B84
	v_cvt_pk_fp8_f32 v129, v134, v135 op_sel:[0,0,1]           // 000000011E20: D2A24081 00030F86
	v_cvt_pk_fp8_f32 v130, v136, v137                          // 000000011E28: D2A20082 00031388
	v_cvt_pk_fp8_f32 v130, v138, v139 op_sel:[0,0,1]           // 000000011E30: D2A24082 0003178A
	v_cvt_pk_fp8_f32 v131, v140, v141                          // 000000011E38: D2A20083 00031B8C
	v_cvt_pk_fp8_f32 v131, v142, v143 op_sel:[0,0,1]           // 000000011E40: D2A24083 00031F8E
	ds_write_b32 v10, v128 offset:29184                        // 000000011E48: D81A7200 0000800A
	ds_write_b32 v10, v129 offset:30208                        // 000000011E50: D81A7600 0000810A
	ds_write_b32 v10, v130 offset:31232                        // 000000011E58: D81A7A00 0000820A
	ds_write_b32 v10, v131 offset:32256                        // 000000011E60: D81A7E00 0000830A
	v_add_f32_e32 v216, v216, v184                             // 000000011E68: 03B171D8
	v_add_f32_e32 v217, v217, v185                             // 000000011E6C: 03B373D9
	v_add_f32_e32 v218, v218, v186                             // 000000011E70: 03B575DA
	v_add_f32_e32 v219, v219, v187                             // 000000011E74: 03B777DB
	v_add_f32_e32 v220, v220, v188                             // 000000011E78: 03B979DC
	v_add_f32_e32 v221, v221, v189                             // 000000011E7C: 03BB7BDD
	v_add_f32_e32 v222, v222, v190                             // 000000011E80: 03BD7DDE
	v_add_f32_e32 v223, v223, v191                             // 000000011E84: 03BF7FDF
	v_rcp_f32_e32 v45, v48                                     // 000000011E88: 7E5A4530
	s_waitcnt lgkmcnt(0)                                       // 000000011E8C: BF8CC07F
	s_barrier                                                  // 000000011E90: BF8A0000
	ds_read_b64 v[128:129], v9 offset:29184                    // 000000011E94: D8EC7200 80000009
	ds_read_b64 v[130:131], v9 offset:29312                    // 000000011E9C: D8EC7280 82000009
	ds_read_b64 v[132:133], v9 offset:30208                    // 000000011EA4: D8EC7600 84000009
	ds_read_b64 v[134:135], v9 offset:30336                    // 000000011EAC: D8EC7680 86000009
	ds_read_b64 v[136:137], v9 offset:31232                    // 000000011EB4: D8EC7A00 88000009
	ds_read_b64 v[138:139], v9 offset:31360                    // 000000011EBC: D8EC7A80 8A000009
	ds_read_b64 v[140:141], v9 offset:32256                    // 000000011EC4: D8EC7E00 8C000009
	ds_read_b64 v[142:143], v9 offset:32384                    // 000000011ECC: D8EC7E80 8E000009
	v_mov_b32_dpp v64, v42 row_shr:4 row_mask:0xf bank_mask:0xf// 000000011ED4: 7E8002FA FF01142A
	v_mov_b32_dpp v65, v42 row_shl:4 row_mask:0xf bank_mask:0xf// 000000011EDC: 7E8202FA FF01042A
	v_cndmask_b32_e64 v248, v42, v64, s[44:45]                 // 000000011EE4: D10000F8 00B2812A
	v_cndmask_b32_e64 v249, v65, v42, s[44:45]                 // 000000011EEC: D10000F9 00B25541
	v_mov_b32_dpp v64, v248 row_shr:8 row_mask:0xf bank_mask:0xf// 000000011EF4: 7E8002FA FF0118F8
	v_mov_b32_dpp v65, v248 row_shl:8 row_mask:0xf bank_mask:0xf// 000000011EFC: 7E8202FA FF0108F8
	v_mov_b32_dpp v66, v249 row_shr:8 row_mask:0xf bank_mask:0xf// 000000011F04: 7E8402FA FF0118F9
	v_mov_b32_dpp v67, v249 row_shl:8 row_mask:0xf bank_mask:0xf// 000000011F0C: 7E8602FA FF0108F9
	v_mov_b32_e32 v68, v248                                    // 000000011F14: 7E8803F8
	v_mov_b32_e32 v69, v249                                    // 000000011F18: 7E8A03F9
	v_cndmask_b32_e64 v248, v68, v64, s[42:43]                 // 000000011F1C: D10000F8 00AA8144
	v_cndmask_b32_e64 v250, v68, v65, s[78:79]                 // 000000011F24: D10000FA 013A8344
	v_cndmask_b32_e64 v249, v69, v66, s[42:43]                 // 000000011F2C: D10000F9 00AA8545
	v_cndmask_b32_e64 v251, v69, v67, s[78:79]                 // 000000011F34: D10000FB 013A8745
	v_mov_b32_dpp v64, v57 row_shr:4 row_mask:0xf bank_mask:0xf// 000000011F3C: 7E8002FA FF011439
	v_mov_b32_dpp v65, v57 row_shl:4 row_mask:0xf bank_mask:0xf// 000000011F44: 7E8202FA FF010439
	v_cndmask_b32_e64 v252, v57, v64, s[44:45]                 // 000000011F4C: D10000FC 00B28139
	v_cndmask_b32_e64 v253, v65, v57, s[44:45]                 // 000000011F54: D10000FD 00B27341
	v_mov_b32_dpp v64, v252 row_shr:8 row_mask:0xf bank_mask:0xf// 000000011F5C: 7E8002FA FF0118FC
	v_mov_b32_dpp v65, v252 row_shl:8 row_mask:0xf bank_mask:0xf// 000000011F64: 7E8202FA FF0108FC
	v_mov_b32_dpp v66, v253 row_shr:8 row_mask:0xf bank_mask:0xf// 000000011F6C: 7E8402FA FF0118FD
	v_mov_b32_dpp v67, v253 row_shl:8 row_mask:0xf bank_mask:0xf// 000000011F74: 7E8602FA FF0108FD
	v_mov_b32_e32 v68, v252                                    // 000000011F7C: 7E8803FC
	v_mov_b32_e32 v69, v253                                    // 000000011F80: 7E8A03FD
	v_cndmask_b32_e64 v252, v68, v64, s[42:43]                 // 000000011F84: D10000FC 00AA8144
	v_cndmask_b32_e64 v254, v68, v65, s[78:79]                 // 000000011F8C: D10000FE 013A8344
	v_cndmask_b32_e64 v253, v69, v66, s[42:43]                 // 000000011F94: D10000FD 00AA8545
	v_cndmask_b32_e64 v255, v69, v67, s[78:79]                 // 000000011F9C: D10000FF 013A8745
	v_mul_f32_e32 v144, v20, v144                              // 000000011FA4: 0B212114
	v_mul_f32_e32 v145, v20, v145                              // 000000011FA8: 0B232314
	v_mul_f32_e32 v146, v20, v146                              // 000000011FAC: 0B252514
	v_mul_f32_e32 v147, v20, v147                              // 000000011FB0: 0B272714
	v_mul_f32_e32 v148, v20, v148                              // 000000011FB4: 0B292914
	v_mul_f32_e32 v149, v20, v149                              // 000000011FB8: 0B2B2B14
	v_mul_f32_e32 v150, v20, v150                              // 000000011FBC: 0B2D2D14
	v_mul_f32_e32 v151, v20, v151                              // 000000011FC0: 0B2F2F14
	v_mul_f32_e32 v152, v20, v152                              // 000000011FC4: 0B313114
	v_mul_f32_e32 v153, v20, v153                              // 000000011FC8: 0B333314
	v_mul_f32_e32 v154, v20, v154                              // 000000011FCC: 0B353514
	v_mul_f32_e32 v155, v20, v155                              // 000000011FD0: 0B373714
	v_mul_f32_e32 v156, v20, v156                              // 000000011FD4: 0B393914
	v_mul_f32_e32 v157, v20, v157                              // 000000011FD8: 0B3B3B14
	v_mul_f32_e32 v158, v20, v158                              // 000000011FDC: 0B3D3D14
	v_mul_f32_e32 v159, v20, v159                              // 000000011FE0: 0B3F3F14
	v_mul_f32_dpp v144, v248, v144 quad_perm:[0,0,0,0] row_mask:0xf bank_mask:0xf// 000000011FE4: 0B2120FA FF0000F8
	v_mul_f32_dpp v145, v248, v145 quad_perm:[1,1,1,1] row_mask:0xf bank_mask:0xf// 000000011FEC: 0B2322FA FF0055F8
	v_mul_f32_dpp v146, v248, v146 quad_perm:[2,2,2,2] row_mask:0xf bank_mask:0xf// 000000011FF4: 0B2524FA FF00AAF8
	v_mul_f32_dpp v147, v248, v147 quad_perm:[3,3,3,3] row_mask:0xf bank_mask:0xf// 000000011FFC: 0B2726FA FF00FFF8
	v_mul_f32_dpp v148, v249, v148 quad_perm:[0,0,0,0] row_mask:0xf bank_mask:0xf// 000000012004: 0B2928FA FF0000F9
	v_mul_f32_dpp v149, v249, v149 quad_perm:[1,1,1,1] row_mask:0xf bank_mask:0xf// 00000001200C: 0B2B2AFA FF0055F9
	v_mul_f32_dpp v150, v249, v150 quad_perm:[2,2,2,2] row_mask:0xf bank_mask:0xf// 000000012014: 0B2D2CFA FF00AAF9
	v_mul_f32_dpp v151, v249, v151 quad_perm:[3,3,3,3] row_mask:0xf bank_mask:0xf// 00000001201C: 0B2F2EFA FF00FFF9
	v_mul_f32_dpp v152, v250, v152 quad_perm:[0,0,0,0] row_mask:0xf bank_mask:0xf// 000000012024: 0B3130FA FF0000FA
	v_mul_f32_dpp v153, v250, v153 quad_perm:[1,1,1,1] row_mask:0xf bank_mask:0xf// 00000001202C: 0B3332FA FF0055FA
	v_mul_f32_dpp v154, v250, v154 quad_perm:[2,2,2,2] row_mask:0xf bank_mask:0xf// 000000012034: 0B3534FA FF00AAFA
	v_mul_f32_dpp v155, v250, v155 quad_perm:[3,3,3,3] row_mask:0xf bank_mask:0xf// 00000001203C: 0B3736FA FF00FFFA
	v_mul_f32_dpp v156, v251, v156 quad_perm:[0,0,0,0] row_mask:0xf bank_mask:0xf// 000000012044: 0B3938FA FF0000FB
	v_mul_f32_dpp v157, v251, v157 quad_perm:[1,1,1,1] row_mask:0xf bank_mask:0xf// 00000001204C: 0B3B3AFA FF0055FB
	v_mul_f32_dpp v158, v251, v158 quad_perm:[2,2,2,2] row_mask:0xf bank_mask:0xf// 000000012054: 0B3D3CFA FF00AAFB
	v_mul_f32_dpp v159, v251, v159 quad_perm:[3,3,3,3] row_mask:0xf bank_mask:0xf// 00000001205C: 0B3F3EFA FF00FFFB
	s_cmp_le_i32 s90, s89                                      // 000000012064: BF05595A
	s_cbranch_scc1 label_400C                                  // 000000012068: BF850071
	v_mov_b32_e32 v66, 0xff800000                              // 00000001206C: 7E8402FF FF800000
	s_mov_b32 s60, s90                                         // 000000012074: BEBC005A
	s_add_u32 s61, s89, 0xff                                   // 000000012078: 803DFF59 000000FF
	v_mov_b32_e32 v64, s61                                     // 000000012080: 7E80023D
	v_lshrrev_b32_e32 v240, 4, v0                              // 000000012084: 21E00084
	v_mul_i32_i24_e32 v240, 4, v240                            // 000000012088: 0DE1E084
	v_add_u32_e32 v240, s60, v240                              // 00000001208C: 69E1E03C
	s_mov_b32 s61, 2                                           // 000000012090: BEBD0082
	s_mul_i32 s60, 16, s7                                      // 000000012094: 923C0790
	v_sub_u32_e64 v240, v240, s61                              // 000000012098: D13500F0 00007BF0
	v_add_u32_e32 v240, s60, v240                              // 0000000120A0: 69E1E03C
	v_add_u32_e32 v241, 1, v240                                // 0000000120A4: 69E3E081
	v_add_u32_e32 v242, 2, v240                                // 0000000120A8: 69E5E082
	v_add_u32_e32 v243, 3, v240                                // 0000000120AC: 69E7E083
	v_cmp_le_u32_e64 s[40:41], v240, v64                       // 0000000120B0: D0CB0028 000281F0
	v_add_u32_e32 v240, 64, v240                               // 0000000120B8: 69E1E0C0
	s_nop 0                                                    // 0000000120BC: BF800000
	v_cndmask_b32_e64 v144, v66, v144, s[40:41]                // 0000000120C0: D1000090 00A32142
	v_cmp_le_u32_e64 s[40:41], v241, v64                       // 0000000120C8: D0CB0028 000281F1
	v_add_u32_e32 v241, 64, v241                               // 0000000120D0: 69E3E2C0
	s_nop 0                                                    // 0000000120D4: BF800000
	v_cndmask_b32_e64 v145, v66, v145, s[40:41]                // 0000000120D8: D1000091 00A32342
	v_cmp_le_u32_e64 s[40:41], v242, v64                       // 0000000120E0: D0CB0028 000281F2
	v_add_u32_e32 v242, 64, v242                               // 0000000120E8: 69E5E4C0
	s_nop 0                                                    // 0000000120EC: BF800000
	v_cndmask_b32_e64 v146, v66, v146, s[40:41]                // 0000000120F0: D1000092 00A32542
	v_cmp_le_u32_e64 s[40:41], v243, v64                       // 0000000120F8: D0CB0028 000281F3
	v_add_u32_e32 v243, 64, v243                               // 000000012100: 69E7E6C0
	s_nop 0                                                    // 000000012104: BF800000
	v_cndmask_b32_e64 v147, v66, v147, s[40:41]                // 000000012108: D1000093 00A32742
	v_cmp_le_u32_e64 s[40:41], v240, v64                       // 000000012110: D0CB0028 000281F0
	v_add_u32_e32 v240, 64, v240                               // 000000012118: 69E1E0C0
	s_nop 0                                                    // 00000001211C: BF800000
	v_cndmask_b32_e64 v148, v66, v148, s[40:41]                // 000000012120: D1000094 00A32942
	v_cmp_le_u32_e64 s[40:41], v241, v64                       // 000000012128: D0CB0028 000281F1
	v_add_u32_e32 v241, 64, v241                               // 000000012130: 69E3E2C0
	s_nop 0                                                    // 000000012134: BF800000
	v_cndmask_b32_e64 v149, v66, v149, s[40:41]                // 000000012138: D1000095 00A32B42
	v_cmp_le_u32_e64 s[40:41], v242, v64                       // 000000012140: D0CB0028 000281F2
	v_add_u32_e32 v242, 64, v242                               // 000000012148: 69E5E4C0
	s_nop 0                                                    // 00000001214C: BF800000
	v_cndmask_b32_e64 v150, v66, v150, s[40:41]                // 000000012150: D1000096 00A32D42
	v_cmp_le_u32_e64 s[40:41], v243, v64                       // 000000012158: D0CB0028 000281F3
	v_add_u32_e32 v243, 64, v243                               // 000000012160: 69E7E6C0
	s_nop 0                                                    // 000000012164: BF800000
	v_cndmask_b32_e64 v151, v66, v151, s[40:41]                // 000000012168: D1000097 00A32F42
	v_cmp_le_u32_e64 s[40:41], v240, v64                       // 000000012170: D0CB0028 000281F0
	v_add_u32_e32 v240, 64, v240                               // 000000012178: 69E1E0C0
	s_nop 0                                                    // 00000001217C: BF800000
	v_cndmask_b32_e64 v152, v66, v152, s[40:41]                // 000000012180: D1000098 00A33142
	v_cmp_le_u32_e64 s[40:41], v241, v64                       // 000000012188: D0CB0028 000281F1
	v_add_u32_e32 v241, 64, v241                               // 000000012190: 69E3E2C0
	s_nop 0                                                    // 000000012194: BF800000
	v_cndmask_b32_e64 v153, v66, v153, s[40:41]                // 000000012198: D1000099 00A33342
	v_cmp_le_u32_e64 s[40:41], v242, v64                       // 0000000121A0: D0CB0028 000281F2
	v_add_u32_e32 v242, 64, v242                               // 0000000121A8: 69E5E4C0
	s_nop 0                                                    // 0000000121AC: BF800000
	v_cndmask_b32_e64 v154, v66, v154, s[40:41]                // 0000000121B0: D100009A 00A33542
	v_cmp_le_u32_e64 s[40:41], v243, v64                       // 0000000121B8: D0CB0028 000281F3
	v_add_u32_e32 v243, 64, v243                               // 0000000121C0: 69E7E6C0
	s_nop 0                                                    // 0000000121C4: BF800000
	v_cndmask_b32_e64 v155, v66, v155, s[40:41]                // 0000000121C8: D100009B 00A33742
	v_cmp_le_u32_e64 s[40:41], v240, v64                       // 0000000121D0: D0CB0028 000281F0
	v_add_u32_e32 v240, 64, v240                               // 0000000121D8: 69E1E0C0
	s_nop 0                                                    // 0000000121DC: BF800000
	v_cndmask_b32_e64 v156, v66, v156, s[40:41]                // 0000000121E0: D100009C 00A33942
	v_cmp_le_u32_e64 s[40:41], v241, v64                       // 0000000121E8: D0CB0028 000281F1
	v_add_u32_e32 v241, 64, v241                               // 0000000121F0: 69E3E2C0
	s_nop 0                                                    // 0000000121F4: BF800000
	v_cndmask_b32_e64 v157, v66, v157, s[40:41]                // 0000000121F8: D100009D 00A33B42
	v_cmp_le_u32_e64 s[40:41], v242, v64                       // 000000012200: D0CB0028 000281F2
	v_add_u32_e32 v242, 64, v242                               // 000000012208: 69E5E4C0
	s_nop 0                                                    // 00000001220C: BF800000
	v_cndmask_b32_e64 v158, v66, v158, s[40:41]                // 000000012210: D100009E 00A33D42
	v_cmp_le_u32_e64 s[40:41], v243, v64                       // 000000012218: D0CB0028 000281F3
	v_add_u32_e32 v243, 64, v243                               // 000000012220: 69E7E6C0
	s_nop 0                                                    // 000000012224: BF800000
	v_cndmask_b32_e64 v159, v66, v159, s[40:41]                // 000000012228: D100009F 00A33F42

0000000000012230 <label_400C>:
	s_add_u32 s90, s91, s90                                    // 000000012230: 805A5A5B
	v_mov_b32_e32 v48, v144                                    // 000000012234: 7E600390
	v_max3_f32 v48, v144, v145, v48                            // 000000012238: D1D30030 04C32390
	v_max3_f32 v48, v146, v147, v48                            // 000000012240: D1D30030 04C32792
	v_max3_f32 v48, v148, v149, v48                            // 000000012248: D1D30030 04C32B94
	v_max3_f32 v48, v150, v151, v48                            // 000000012250: D1D30030 04C32F96
	v_max3_f32 v48, v152, v153, v48                            // 000000012258: D1D30030 04C33398
	v_max3_f32 v48, v154, v155, v48                            // 000000012260: D1D30030 04C3379A
	v_max3_f32 v48, v156, v157, v48                            // 000000012268: D1D30030 04C33B9C
	v_max3_f32 v48, v158, v159, v48                            // 000000012270: D1D30030 04C33F9E
	ds_write_b32 v8, v48 offset:16896                          // 000000012278: D81A4200 00003008
	v_mul_f32_e32 v224, v51, v224                              // 000000012280: 0BC1C133
	v_mul_f32_e32 v225, v51, v225                              // 000000012284: 0BC3C333
	v_mul_f32_e32 v226, v51, v226                              // 000000012288: 0BC5C533
	v_mul_f32_e32 v227, v51, v227                              // 00000001228C: 0BC7C733
	v_mul_f32_e32 v228, v51, v228                              // 000000012290: 0BC9C933
	v_mul_f32_e32 v229, v51, v229                              // 000000012294: 0BCBCB33
	v_mul_f32_e32 v230, v51, v230                              // 000000012298: 0BCDCD33
	v_mul_f32_e32 v231, v51, v231                              // 00000001229C: 0BCFCF33
	s_waitcnt lgkmcnt(0)                                       // 0000000122A0: BF8CC07F
	s_barrier                                                  // 0000000122A4: BF8A0000
	ds_read_b32 v64, v7 offset:16896                           // 0000000122A8: D86C4200 40000007
	ds_read_b32 v65, v7 offset:16960                           // 0000000122B0: D86C4240 41000007
	ds_read_b32 v66, v7 offset:17024                           // 0000000122B8: D86C4280 42000007
	ds_read_b32 v67, v7 offset:17088                           // 0000000122C0: D86C42C0 43000007
	ds_read_b32 v68, v7 offset:17152                           // 0000000122C8: D86C4300 44000007
	ds_read_b32 v69, v7 offset:17216                           // 0000000122D0: D86C4340 45000007
	ds_read_b32 v70, v7 offset:17280                           // 0000000122D8: D86C4380 46000007
	ds_read_b32 v71, v7 offset:17344                           // 0000000122E0: D86C43C0 47000007
	ds_read_b32 v72, v7 offset:17408                           // 0000000122E8: D86C4400 48000007
	ds_read_b32 v73, v7 offset:17472                           // 0000000122F0: D86C4440 49000007
	ds_read_b32 v74, v7 offset:17536                           // 0000000122F8: D86C4480 4A000007
	ds_read_b32 v75, v7 offset:17600                           // 000000012300: D86C44C0 4B000007
	ds_read_b32 v76, v7 offset:17664                           // 000000012308: D86C4500 4C000007
	ds_read_b32 v77, v7 offset:17728                           // 000000012310: D86C4540 4D000007
	ds_read_b32 v78, v7 offset:17792                           // 000000012318: D86C4580 4E000007
	ds_read_b32 v79, v7 offset:17856                           // 000000012320: D86C45C0 4F000007
	v_mul_f32_e32 v192, v46, v192                              // 000000012328: 0B81812E
	v_mul_f32_e32 v193, v46, v193                              // 00000001232C: 0B83832E
	v_mul_f32_e32 v194, v46, v194                              // 000000012330: 0B85852E
	v_mul_f32_e32 v195, v46, v195                              // 000000012334: 0B87872E
	v_mul_f32_e32 v196, v46, v196                              // 000000012338: 0B89892E
	v_mul_f32_e32 v197, v46, v197                              // 00000001233C: 0B8B8B2E
	v_mul_f32_e32 v198, v46, v198                              // 000000012340: 0B8D8D2E
	v_mul_f32_e32 v199, v46, v199                              // 000000012344: 0B8F8F2E
	s_waitcnt lgkmcnt(0)                                       // 000000012348: BF8CC07F
	v_max3_f32 v48, v64, v65, v48                              // 00000001234C: D1D30030 04C28340
	v_max3_f32 v48, v66, v67, v48                              // 000000012354: D1D30030 04C28742
	v_max3_f32 v48, v68, v69, v48                              // 00000001235C: D1D30030 04C28B44
	v_max3_f32 v48, v70, v71, v48                              // 000000012364: D1D30030 04C28F46
	v_max3_f32 v48, v72, v73, v48                              // 00000001236C: D1D30030 04C29348
	v_max3_f32 v48, v74, v75, v48                              // 000000012374: D1D30030 04C2974A
	v_max3_f32 v48, v76, v77, v48                              // 00000001237C: D1D30030 04C29B4C
	v_max3_f32 v48, v78, v79, v48                              // 000000012384: D1D30030 04C29F4E
	v_mov_b32_e32 v64, 0xff800000                              // 00000001238C: 7E8002FF FF800000
	v_cmp_eq_u32_e64 s[40:41], v64, v13                        // 000000012394: D0CA0028 00021B40
	s_nop 1                                                    // 00000001239C: BF800001
	v_max_f32_e32 v15, v48, v13                                // 0000000123A0: 161E1B30
	v_mul_f32_e32 v53, s64, v15                                // 0000000123A4: 0A6A1E40
	v_fma_f32 v144, v144, s64, -v53                            // 0000000123A8: D1CB0090 84D48190
	v_fma_f32 v145, v145, s64, -v53                            // 0000000123B0: D1CB0091 84D48191
	v_fma_f32 v146, v146, s64, -v53                            // 0000000123B8: D1CB0092 84D48192
	v_fma_f32 v147, v147, s64, -v53                            // 0000000123C0: D1CB0093 84D48193
	v_fma_f32 v148, v148, s64, -v53                            // 0000000123C8: D1CB0094 84D48194
	v_fma_f32 v149, v149, s64, -v53                            // 0000000123D0: D1CB0095 84D48195
	v_fma_f32 v150, v150, s64, -v53                            // 0000000123D8: D1CB0096 84D48196
	v_fma_f32 v151, v151, s64, -v53                            // 0000000123E0: D1CB0097 84D48197
	v_fma_f32 v152, v152, s64, -v53                            // 0000000123E8: D1CB0098 84D48198
	v_fma_f32 v153, v153, s64, -v53                            // 0000000123F0: D1CB0099 84D48199
	v_fma_f32 v154, v154, s64, -v53                            // 0000000123F8: D1CB009A 84D4819A
	v_fma_f32 v155, v155, s64, -v53                            // 000000012400: D1CB009B 84D4819B
	v_fma_f32 v156, v156, s64, -v53                            // 000000012408: D1CB009C 84D4819C
	v_fma_f32 v157, v157, s64, -v53                            // 000000012410: D1CB009D 84D4819D
	v_fma_f32 v158, v158, s64, -v53                            // 000000012418: D1CB009E 84D4819E
	v_fma_f32 v159, v159, s64, -v53                            // 000000012420: D1CB009F 84D4819F
	v_exp_f32_e32 v144, v144                                   // 000000012428: 7F204190
	v_exp_f32_e32 v145, v145                                   // 00000001242C: 7F224191
	v_exp_f32_e32 v146, v146                                   // 000000012430: 7F244192
	v_exp_f32_e32 v147, v147                                   // 000000012434: 7F264193
	v_exp_f32_e32 v148, v148                                   // 000000012438: 7F284194
	v_exp_f32_e32 v149, v149                                   // 00000001243C: 7F2A4195
	v_exp_f32_e32 v150, v150                                   // 000000012440: 7F2C4196
	v_exp_f32_e32 v151, v151                                   // 000000012444: 7F2E4197
	v_exp_f32_e32 v152, v152                                   // 000000012448: 7F304198
	v_exp_f32_e32 v153, v153                                   // 00000001244C: 7F324199
	v_exp_f32_e32 v154, v154                                   // 000000012450: 7F34419A
	v_exp_f32_e32 v155, v155                                   // 000000012454: 7F36419B
	v_exp_f32_e32 v156, v156                                   // 000000012458: 7F38419C
	v_exp_f32_e32 v157, v157                                   // 00000001245C: 7F3A419D
	v_exp_f32_e32 v158, v158                                   // 000000012460: 7F3C419E
	v_exp_f32_e32 v159, v159                                   // 000000012464: 7F3E419F
	v_mul_f32_dpp v240, v252, v144 quad_perm:[0,0,0,0] row_mask:0xf bank_mask:0xf// 000000012468: 0BE120FA FF0000FC
	v_mul_f32_dpp v241, v252, v145 quad_perm:[1,1,1,1] row_mask:0xf bank_mask:0xf// 000000012470: 0BE322FA FF0055FC
	v_mul_f32_dpp v242, v252, v146 quad_perm:[2,2,2,2] row_mask:0xf bank_mask:0xf// 000000012478: 0BE524FA FF00AAFC
	v_mul_f32_dpp v243, v252, v147 quad_perm:[3,3,3,3] row_mask:0xf bank_mask:0xf// 000000012480: 0BE726FA FF00FFFC
	v_mul_f32_dpp v244, v253, v148 quad_perm:[0,0,0,0] row_mask:0xf bank_mask:0xf// 000000012488: 0BE928FA FF0000FD
	v_mul_f32_dpp v245, v253, v149 quad_perm:[1,1,1,1] row_mask:0xf bank_mask:0xf// 000000012490: 0BEB2AFA FF0055FD
	v_mul_f32_dpp v246, v253, v150 quad_perm:[2,2,2,2] row_mask:0xf bank_mask:0xf// 000000012498: 0BED2CFA FF00AAFD
	v_mul_f32_dpp v247, v253, v151 quad_perm:[3,3,3,3] row_mask:0xf bank_mask:0xf// 0000000124A0: 0BEF2EFA FF00FFFD
	v_mul_f32_dpp v248, v254, v152 quad_perm:[0,0,0,0] row_mask:0xf bank_mask:0xf// 0000000124A8: 0BF130FA FF0000FE
	v_mul_f32_dpp v249, v254, v153 quad_perm:[1,1,1,1] row_mask:0xf bank_mask:0xf// 0000000124B0: 0BF332FA FF0055FE
	v_mul_f32_dpp v250, v254, v154 quad_perm:[2,2,2,2] row_mask:0xf bank_mask:0xf// 0000000124B8: 0BF534FA FF00AAFE
	v_mul_f32_dpp v251, v254, v155 quad_perm:[3,3,3,3] row_mask:0xf bank_mask:0xf// 0000000124C0: 0BF736FA FF00FFFE
	v_mul_f32_dpp v252, v255, v156 quad_perm:[0,0,0,0] row_mask:0xf bank_mask:0xf// 0000000124C8: 0BF938FA FF0000FF
	v_mul_f32_dpp v253, v255, v157 quad_perm:[1,1,1,1] row_mask:0xf bank_mask:0xf// 0000000124D0: 0BFB3AFA FF0055FF
	v_mul_f32_dpp v254, v255, v158 quad_perm:[2,2,2,2] row_mask:0xf bank_mask:0xf// 0000000124D8: 0BFD3CFA FF00AAFF
	v_mul_f32_dpp v255, v255, v159 quad_perm:[3,3,3,3] row_mask:0xf bank_mask:0xf// 0000000124E0: 0BFF3EFA FF00FFFF
	v_mov_b32_e32 v48, 0x358637bd                              // 0000000124E8: 7E6002FF 358637BD
	v_max3_f32 v48, |v240|, |v241|, v48                        // 0000000124F0: D1D30330 04C3E3F0
	v_max3_f32 v48, |v242|, |v243|, v48                        // 0000000124F8: D1D30330 04C3E7F2
	v_max3_f32 v48, |v244|, |v245|, v48                        // 000000012500: D1D30330 04C3EBF4
	v_max3_f32 v48, |v246|, |v247|, v48                        // 000000012508: D1D30330 04C3EFF6
	v_max3_f32 v48, |v248|, |v249|, v48                        // 000000012510: D1D30330 04C3F3F8
	v_max3_f32 v48, |v250|, |v251|, v48                        // 000000012518: D1D30330 04C3F7FA
	v_max3_f32 v48, |v252|, |v253|, v48                        // 000000012520: D1D30330 04C3FBFC
	v_max3_f32 v48, |v254|, |v255|, v48                        // 000000012528: D1D30330 04C3FFFE
	ds_write_b32 v8, v48 offset:20992                          // 000000012530: D81A5200 00003008
	v_sub_f32_e32 v51, v13, v15                                // 000000012538: 04661F0D
	v_cndmask_b32_e64 v51, v51, 0, s[40:41]                    // 00000001253C: D1000033 00A10133
	v_mov_b32_e32 v13, v15                                     // 000000012544: 7E1A030F
	v_mul_f32_e32 v51, s64, v51                                // 000000012548: 0A666640
	v_exp_f32_e32 v51, v51                                     // 00000001254C: 7E664133
	s_waitcnt lgkmcnt(0)                                       // 000000012550: BF8CC07F
	s_barrier                                                  // 000000012554: BF8A0000
	ds_read_b32 v64, v7 offset:20992                           // 000000012558: D86C5200 40000007
	ds_read_b32 v65, v7 offset:21056                           // 000000012560: D86C5240 41000007
	ds_read_b32 v66, v7 offset:21120                           // 000000012568: D86C5280 42000007
	ds_read_b32 v67, v7 offset:21184                           // 000000012570: D86C52C0 43000007
	ds_read_b32 v68, v7 offset:21248                           // 000000012578: D86C5300 44000007
	ds_read_b32 v69, v7 offset:21312                           // 000000012580: D86C5340 45000007
	ds_read_b32 v70, v7 offset:21376                           // 000000012588: D86C5380 46000007
	ds_read_b32 v71, v7 offset:21440                           // 000000012590: D86C53C0 47000007
	ds_read_b32 v72, v7 offset:21504                           // 000000012598: D86C5400 48000007
	ds_read_b32 v73, v7 offset:21568                           // 0000000125A0: D86C5440 49000007
	ds_read_b32 v74, v7 offset:21632                           // 0000000125A8: D86C5480 4A000007
	ds_read_b32 v75, v7 offset:21696                           // 0000000125B0: D86C54C0 4B000007
	ds_read_b32 v76, v7 offset:21760                           // 0000000125B8: D86C5500 4C000007
	ds_read_b32 v77, v7 offset:21824                           // 0000000125C0: D86C5540 4D000007
	ds_read_b32 v78, v7 offset:21888                           // 0000000125C8: D86C5580 4E000007
	ds_read_b32 v79, v7 offset:21952                           // 0000000125D0: D86C55C0 4F000007
	v_mul_f32_e32 v40, v51, v40                                // 0000000125D8: 0A505133
	v_mov_b32_e32 v15, v144                                    // 0000000125DC: 7E1E0390
	v_add_f32_e32 v15, v145, v15                               // 0000000125E0: 021E1F91
	v_add_f32_e32 v15, v146, v15                               // 0000000125E4: 021E1F92
	v_add_f32_e32 v15, v147, v15                               // 0000000125E8: 021E1F93
	v_add_f32_e32 v15, v148, v15                               // 0000000125EC: 021E1F94
	v_add_f32_e32 v15, v149, v15                               // 0000000125F0: 021E1F95
	v_add_f32_e32 v15, v150, v15                               // 0000000125F4: 021E1F96
	v_add_f32_e32 v15, v151, v15                               // 0000000125F8: 021E1F97
	v_add_f32_e32 v15, v152, v15                               // 0000000125FC: 021E1F98
	v_add_f32_e32 v15, v153, v15                               // 000000012600: 021E1F99
	v_add_f32_e32 v15, v154, v15                               // 000000012604: 021E1F9A
	v_add_f32_e32 v15, v155, v15                               // 000000012608: 021E1F9B
	v_add_f32_e32 v15, v156, v15                               // 00000001260C: 021E1F9C
	v_add_f32_e32 v15, v157, v15                               // 000000012610: 021E1F9D
	v_add_f32_e32 v15, v158, v15                               // 000000012614: 021E1F9E
	v_add_f32_e32 v15, v159, v15                               // 000000012618: 021E1F9F
	v_add_f32_e32 v40, v15, v40                                // 00000001261C: 0250510F
	s_waitcnt lgkmcnt(0)                                       // 000000012620: BF8CC07F
	v_max3_f32 v48, |v64|, |v65|, v48                          // 000000012624: D1D30330 04C28340
	v_max3_f32 v48, |v66|, |v67|, v48                          // 00000001262C: D1D30330 04C28742
	v_max3_f32 v48, |v68|, |v69|, v48                          // 000000012634: D1D30330 04C28B44
	v_max3_f32 v48, |v70|, |v71|, v48                          // 00000001263C: D1D30330 04C28F46
	v_max3_f32 v48, |v72|, |v73|, v48                          // 000000012644: D1D30330 04C29348
	v_max3_f32 v48, |v74|, |v75|, v48                          // 00000001264C: D1D30330 04C2974A
	v_max3_f32 v48, |v76|, |v77|, v48                          // 000000012654: D1D30330 04C29B4C
	v_max3_f32 v48, |v78|, |v79|, v48                          // 00000001265C: D1D30330 04C29F4E
	s_nop 2                                                    // 000000012664: BF800002
	v_rcp_f32_e32 v48, v48                                     // 000000012668: 7E604530
	s_nop 1                                                    // 00000001266C: BF800001
	v_mul_f32_e32 v48, 0x43e00000, v48                         // 000000012670: 0A6060FF 43E00000
	v_mul_f32_e32 v144, v48, v240                              // 000000012678: 0B21E130
	v_mul_f32_e32 v145, v48, v241                              // 00000001267C: 0B23E330
	v_mul_f32_e32 v146, v48, v242                              // 000000012680: 0B25E530
	v_mul_f32_e32 v147, v48, v243                              // 000000012684: 0B27E730
	v_mul_f32_e32 v148, v48, v244                              // 000000012688: 0B29E930
	v_mul_f32_e32 v149, v48, v245                              // 00000001268C: 0B2BEB30
	v_mul_f32_e32 v150, v48, v246                              // 000000012690: 0B2DED30
	v_mul_f32_e32 v151, v48, v247                              // 000000012694: 0B2FEF30
	v_mul_f32_e32 v152, v48, v248                              // 000000012698: 0B31F130
	v_mul_f32_e32 v153, v48, v249                              // 00000001269C: 0B33F330
	v_mul_f32_e32 v154, v48, v250                              // 0000000126A0: 0B35F530
	v_mul_f32_e32 v155, v48, v251                              // 0000000126A4: 0B37F730
	v_mul_f32_e32 v156, v48, v252                              // 0000000126A8: 0B39F930
	v_mul_f32_e32 v157, v48, v253                              // 0000000126AC: 0B3BFB30
	v_mul_f32_e32 v158, v48, v254                              // 0000000126B0: 0B3DFD30
	v_mul_f32_e32 v159, v48, v255                              // 0000000126B4: 0B3FFF30
	v_cvt_pk_fp8_f32 v144, v144, v145                          // 0000000126B8: D2A20090 00032390
	v_cvt_pk_fp8_f32 v144, v146, v147 op_sel:[0,0,1]           // 0000000126C0: D2A24090 00032792
	v_cvt_pk_fp8_f32 v145, v148, v149                          // 0000000126C8: D2A20091 00032B94
	v_cvt_pk_fp8_f32 v145, v150, v151 op_sel:[0,0,1]           // 0000000126D0: D2A24091 00032F96
	v_cvt_pk_fp8_f32 v146, v152, v153                          // 0000000126D8: D2A20092 00033398
	v_cvt_pk_fp8_f32 v146, v154, v155 op_sel:[0,0,1]           // 0000000126E0: D2A24092 0003379A
	v_cvt_pk_fp8_f32 v147, v156, v157                          // 0000000126E8: D2A20093 00033B9C
	v_cvt_pk_fp8_f32 v147, v158, v159 op_sel:[0,0,1]           // 0000000126F0: D2A24093 00033F9E
	ds_write_b32 v10, v144 offset:33280                        // 0000000126F8: D81A8200 0000900A
	ds_write_b32 v10, v145 offset:34304                        // 000000012700: D81A8600 0000910A
	ds_write_b32 v10, v146 offset:35328                        // 000000012708: D81A8A00 0000920A
	ds_write_b32 v10, v147 offset:36352                        // 000000012710: D81A8E00 0000930A
	v_add_f32_e32 v224, v224, v192                             // 000000012718: 03C181E0
	v_add_f32_e32 v225, v225, v193                             // 00000001271C: 03C383E1
	v_add_f32_e32 v226, v226, v194                             // 000000012720: 03C585E2
	v_add_f32_e32 v227, v227, v195                             // 000000012724: 03C787E3
	v_add_f32_e32 v228, v228, v196                             // 000000012728: 03C989E4
	v_add_f32_e32 v229, v229, v197                             // 00000001272C: 03CB8BE5
	v_add_f32_e32 v230, v230, v198                             // 000000012730: 03CD8DE6
	v_add_f32_e32 v231, v231, v199                             // 000000012734: 03CF8FE7
	v_rcp_f32_e32 v46, v48                                     // 000000012738: 7E5C4530
	s_waitcnt lgkmcnt(0)                                       // 00000001273C: BF8CC07F
	s_barrier                                                  // 000000012740: BF8A0000
	ds_read_b64 v[144:145], v9 offset:33280                    // 000000012744: D8EC8200 90000009
	ds_read_b64 v[146:147], v9 offset:33408                    // 00000001274C: D8EC8280 92000009
	ds_read_b64 v[148:149], v9 offset:34304                    // 000000012754: D8EC8600 94000009
	ds_read_b64 v[150:151], v9 offset:34432                    // 00000001275C: D8EC8680 96000009
	ds_read_b64 v[152:153], v9 offset:35328                    // 000000012764: D8EC8A00 98000009
	ds_read_b64 v[154:155], v9 offset:35456                    // 00000001276C: D8EC8A80 9A000009
	ds_read_b64 v[156:157], v9 offset:36352                    // 000000012774: D8EC8E00 9C000009
	ds_read_b64 v[158:159], v9 offset:36480                    // 00000001277C: D8EC8E80 9E000009
	s_waitcnt vmcnt(15)                                        // 000000012784: BF8C0F7F
	v_mfma_f32_16x16x32_fp8_fp8 v[176:179], a[64:65], v[112:113], 0// 000000012788: D3F300B0 0A02E140
	v_mfma_f32_16x16x32_fp8_fp8 v[176:179], a[66:67], v[114:115], v[176:179]// 000000012790: D3F300B0 0EC2E542
	buffer_load_dwordx4 a[112:115], v34, s[20:23], 0 offen offset:1024// 000000012798: E05C1400 80857022
	v_mfma_f32_16x16x32_fp8_fp8 v[176:179], a[68:69], v[116:117], v[176:179]// 0000000127A0: D3F300B0 0EC2E944
	v_mfma_f32_16x16x32_fp8_fp8 v[176:179], a[70:71], v[118:119], v[176:179]// 0000000127A8: D3F300B0 0EC2ED46
	v_mfma_f32_16x16x32_fp8_fp8 v[176:179], a[72:73], v[120:121], v[176:179]// 0000000127B0: D3F300B0 0EC2F148
	v_mfma_f32_16x16x32_fp8_fp8 v[176:179], a[74:75], v[122:123], v[176:179]// 0000000127B8: D3F300B0 0EC2F54A
	buffer_load_dwordx4 a[116:119], v35, s[20:23], 0 offen offset:1024// 0000000127C0: E05C1400 80857423
	v_mfma_f32_16x16x32_fp8_fp8 v[176:179], a[76:77], v[124:125], v[176:179]// 0000000127C8: D3F300B0 0EC2F94C
	v_mfma_f32_16x16x32_fp8_fp8 v[176:179], a[78:79], v[126:127], v[176:179]// 0000000127D0: D3F300B0 0EC2FD4E
	v_mfma_f32_16x16x32_fp8_fp8 v[180:183], a[80:81], v[112:113], 0// 0000000127D8: D3F300B4 0A02E150
	v_mfma_f32_16x16x32_fp8_fp8 v[180:183], a[82:83], v[114:115], v[180:183]// 0000000127E0: D3F300B4 0ED2E552
	buffer_load_dwordx4 a[120:123], v36, s[20:23], 0 offen offset:1024// 0000000127E8: E05C1400 80857824
	v_mfma_f32_16x16x32_fp8_fp8 v[180:183], a[84:85], v[116:117], v[180:183]// 0000000127F0: D3F300B4 0ED2E954
	v_mfma_f32_16x16x32_fp8_fp8 v[180:183], a[86:87], v[118:119], v[180:183]// 0000000127F8: D3F300B4 0ED2ED56
	v_mfma_f32_16x16x32_fp8_fp8 v[180:183], a[88:89], v[120:121], v[180:183]// 000000012800: D3F300B4 0ED2F158
	v_mfma_f32_16x16x32_fp8_fp8 v[180:183], a[90:91], v[122:123], v[180:183]// 000000012808: D3F300B4 0ED2F55A
	buffer_load_dwordx4 a[124:127], v37, s[20:23], 0 offen offset:1024// 000000012810: E05C1400 80857C25
	v_mfma_f32_16x16x32_fp8_fp8 v[180:183], a[92:93], v[124:125], v[180:183]// 000000012818: D3F300B4 0ED2F95C
	s_lshr_b32 s57, s70, 4                                     // 000000012820: 8F398446
	s_add_u32 s57, 48, s57                                     // 000000012824: 803939B0
	v_mfma_f32_16x16x32_fp8_fp8 v[180:183], a[94:95], v[126:127], v[180:183]// 000000012828: D3F300B4 0ED2FD5E
	s_cmp_ge_u32 s57, s73                                      // 000000012830: BF094939
	s_cselect_b32 s56, 0, s56                                  // 000000012834: 85383880
	v_mfma_f32_16x16x32_fp8_fp8 v[184:187], a[64:65], v[128:129], 0// 000000012838: D3F300B8 0A030140
	v_mfma_f32_16x16x32_fp8_fp8 v[184:187], a[66:67], v[130:131], v[184:187]// 000000012840: D3F300B8 0EE30542
	v_mfma_f32_16x16x32_fp8_fp8 v[184:187], a[68:69], v[132:133], v[184:187]// 000000012848: D3F300B8 0EE30944
	v_mfma_f32_16x16x32_fp8_fp8 v[184:187], a[70:71], v[134:135], v[184:187]// 000000012850: D3F300B8 0EE30D46
	v_mfma_f32_16x16x32_fp8_fp8 v[184:187], a[72:73], v[136:137], v[184:187]// 000000012858: D3F300B8 0EE31148
	v_mfma_f32_16x16x32_fp8_fp8 v[184:187], a[74:75], v[138:139], v[184:187]// 000000012860: D3F300B8 0EE3154A
	v_mfma_f32_16x16x32_fp8_fp8 v[184:187], a[76:77], v[140:141], v[184:187]// 000000012868: D3F300B8 0EE3194C
	v_mfma_f32_16x16x32_fp8_fp8 v[184:187], a[78:79], v[142:143], v[184:187]// 000000012870: D3F300B8 0EE31D4E
	v_mfma_f32_16x16x32_fp8_fp8 v[188:191], a[80:81], v[128:129], 0// 000000012878: D3F300BC 0A030150
	v_mfma_f32_16x16x32_fp8_fp8 v[188:191], a[82:83], v[130:131], v[188:191]// 000000012880: D3F300BC 0EF30552
	v_mfma_f32_16x16x32_fp8_fp8 v[188:191], a[84:85], v[132:133], v[188:191]// 000000012888: D3F300BC 0EF30954
	v_mfma_f32_16x16x32_fp8_fp8 v[188:191], a[86:87], v[134:135], v[188:191]// 000000012890: D3F300BC 0EF30D56
	v_mfma_f32_16x16x32_fp8_fp8 v[188:191], a[88:89], v[136:137], v[188:191]// 000000012898: D3F300BC 0EF31158
	v_mfma_f32_16x16x32_fp8_fp8 v[188:191], a[90:91], v[138:139], v[188:191]// 0000000128A0: D3F300BC 0EF3155A
	v_mfma_f32_16x16x32_fp8_fp8 v[188:191], a[92:93], v[140:141], v[188:191]// 0000000128A8: D3F300BC 0EF3195C
	v_mfma_f32_16x16x32_fp8_fp8 v[188:191], a[94:95], v[142:143], v[188:191]// 0000000128B0: D3F300BC 0EF31D5E
	v_mfma_f32_16x16x32_fp8_fp8 v[192:195], a[64:65], v[144:145], 0// 0000000128B8: D3F300C0 0A032140
	v_mfma_f32_16x16x32_fp8_fp8 v[192:195], a[66:67], v[146:147], v[192:195]// 0000000128C0: D3F300C0 0F032542
	v_mfma_f32_16x16x32_fp8_fp8 v[192:195], a[68:69], v[148:149], v[192:195]// 0000000128C8: D3F300C0 0F032944
	v_mfma_f32_16x16x32_fp8_fp8 v[192:195], a[70:71], v[150:151], v[192:195]// 0000000128D0: D3F300C0 0F032D46
	v_mfma_f32_16x16x32_fp8_fp8 v[192:195], a[72:73], v[152:153], v[192:195]// 0000000128D8: D3F300C0 0F033148
	v_mfma_f32_16x16x32_fp8_fp8 v[192:195], a[74:75], v[154:155], v[192:195]// 0000000128E0: D3F300C0 0F03354A
	v_mfma_f32_16x16x32_fp8_fp8 v[192:195], a[76:77], v[156:157], v[192:195]// 0000000128E8: D3F300C0 0F03394C
	v_mfma_f32_16x16x32_fp8_fp8 v[192:195], a[78:79], v[158:159], v[192:195]// 0000000128F0: D3F300C0 0F033D4E
	v_mfma_f32_16x16x32_fp8_fp8 v[196:199], a[80:81], v[144:145], 0// 0000000128F8: D3F300C4 0A032150
	v_mfma_f32_16x16x32_fp8_fp8 v[196:199], a[82:83], v[146:147], v[196:199]// 000000012900: D3F300C4 0F132552
	v_mfma_f32_16x16x32_fp8_fp8 v[196:199], a[84:85], v[148:149], v[196:199]// 000000012908: D3F300C4 0F132954
	v_mfma_f32_16x16x32_fp8_fp8 v[196:199], a[86:87], v[150:151], v[196:199]// 000000012910: D3F300C4 0F132D56
	v_mfma_f32_16x16x32_fp8_fp8 v[196:199], a[88:89], v[152:153], v[196:199]// 000000012918: D3F300C4 0F133158
	v_mfma_f32_16x16x32_fp8_fp8 v[196:199], a[90:91], v[154:155], v[196:199]// 000000012920: D3F300C4 0F13355A
	v_mfma_f32_16x16x32_fp8_fp8 v[196:199], a[92:93], v[156:157], v[196:199]// 000000012928: D3F300C4 0F13395C
	v_mfma_f32_16x16x32_fp8_fp8 v[196:199], a[94:95], v[158:159], v[196:199]// 000000012930: D3F300C4 0F133D5E
	v_add_u32_e32 v1, s56, v1                                  // 000000012938: 68020238
	s_addk_i32 s70, 0x100                                      // 00000001293C: B7460100
	s_cmp_lt_i32 s70, s71                                      // 000000012940: BF044746
	s_cbranch_scc0 label_4963                                  // 000000012944: BF840791
	s_waitcnt vmcnt(8) lgkmcnt(0)                              // 000000012948: BF8C0078
	v_mul_u32_u24_dpp v64, v16, v54 row_newbcast:0 row_mask:0xf bank_mask:0xf// 00000001294C: 10806CFA FF015010
	v_mul_u32_u24_dpp v65, v16, v54 row_newbcast:4 row_mask:0xf bank_mask:0xf// 000000012954: 10826CFA FF015410
	v_mul_u32_u24_dpp v66, v16, v54 row_newbcast:8 row_mask:0xf bank_mask:0xf// 00000001295C: 10846CFA FF015810
	v_mul_u32_u24_dpp v67, v16, v54 row_newbcast:12 row_mask:0xf bank_mask:0xf// 000000012964: 10866CFA FF015C10
	v_add_u32_e32 v22, v64, v5                                 // 00000001296C: 682C0B40
	v_add_u32_e32 v23, v65, v5                                 // 000000012970: 682E0B41
	v_add_u32_e32 v24, v66, v5                                 // 000000012974: 68300B42
	v_add_u32_e32 v25, v67, v5                                 // 000000012978: 68320B43
	v_mul_u32_u24_dpp v64, v16, v63 quad_perm:[0,0,0,0] row_mask:0xf bank_mask:0xf// 00000001297C: 10807EFA FF000010
	v_add_u32_e32 v2, v64, v59                                 // 000000012984: 68047740
	v_mul_u32_u24_dpp v64, v16, v63 quad_perm:[0,0,0,0] row_mask:0xf bank_mask:0xf// 000000012988: 10807EFA FF000010
	v_add_u32_e32 v55, v64, v60                                // 000000012990: 686E7940
	v_mfma_f32_16x16x32_fp8_fp8 v[112:115], a[32:33], v[80:81], 0// 000000012994: D3F30070 0A02A120
	v_mfma_f32_16x16x32_fp8_fp8 v[112:115], a[34:35], v[82:83], v[112:115]// 00000001299C: D3F30070 0DC2A522
	buffer_load_dwordx4 a[0:3], v22, s[16:19], 0 offen         // 0000000129A4: E05C1000 80840016
	v_mfma_f32_16x16x32_fp8_fp8 v[112:115], a[36:37], v[84:85], v[112:115]// 0000000129AC: D3F30070 0DC2A924
	v_mfma_f32_16x16x32_fp8_fp8 v[112:115], a[38:39], v[86:87], v[112:115]// 0000000129B4: D3F30070 0DC2AD26
	buffer_load_dword v17, v1, s[24:27], 0 offen               // 0000000129BC: E0501000 80061101
	v_mfma_f32_16x16x32_fp8_fp8 v[116:119], a[40:41], v[80:81], 0// 0000000129C4: D3F30074 0A02A128
	v_mfma_f32_16x16x32_fp8_fp8 v[116:119], a[42:43], v[82:83], v[116:119]// 0000000129CC: D3F30074 0DD2A52A
	buffer_load_dwordx4 a[4:7], v22, s[16:19], 0 offen offset:1024// 0000000129D4: E05C1400 80840416
	v_mfma_f32_16x16x32_fp8_fp8 v[116:119], a[44:45], v[84:85], v[116:119]// 0000000129DC: D3F30074 0DD2A92C
	v_mfma_f32_16x16x32_fp8_fp8 v[116:119], a[46:47], v[86:87], v[116:119]// 0000000129E4: D3F30074 0DD2AD2E
	v_mfma_f32_16x16x32_fp8_fp8 v[120:123], a[48:49], v[80:81], 0// 0000000129EC: D3F30078 0A02A130
	v_mfma_f32_16x16x32_fp8_fp8 v[120:123], a[50:51], v[82:83], v[120:123]// 0000000129F4: D3F30078 0DE2A532
	buffer_load_dwordx4 a[8:11], v23, s[16:19], 0 offen        // 0000000129FC: E05C1000 80840817
	v_mfma_f32_16x16x32_fp8_fp8 v[120:123], a[52:53], v[84:85], v[120:123]// 000000012A04: D3F30078 0DE2A934
	v_mfma_f32_16x16x32_fp8_fp8 v[120:123], a[54:55], v[86:87], v[120:123]// 000000012A0C: D3F30078 0DE2AD36
	v_mfma_f32_16x16x32_fp8_fp8 v[124:127], a[56:57], v[80:81], 0// 000000012A14: D3F3007C 0A02A138
	v_mfma_f32_16x16x32_fp8_fp8 v[124:127], a[58:59], v[82:83], v[124:127]// 000000012A1C: D3F3007C 0DF2A53A
	buffer_load_dwordx4 a[12:15], v23, s[16:19], 0 offen offset:1024// 000000012A24: E05C1400 80840C17
	v_mfma_f32_16x16x32_fp8_fp8 v[124:127], a[60:61], v[84:85], v[124:127]// 000000012A2C: D3F3007C 0DF2A93C
	v_mfma_f32_16x16x32_fp8_fp8 v[124:127], a[62:63], v[86:87], v[124:127]// 000000012A34: D3F3007C 0DF2AD3E
	v_mfma_f32_16x16x32_fp8_fp8 v[128:131], a[32:33], v[88:89], 0// 000000012A3C: D3F30080 0A02B120
	v_mfma_f32_16x16x32_fp8_fp8 v[128:131], a[34:35], v[90:91], v[128:131]// 000000012A44: D3F30080 0E02B522
	v_mfma_f32_16x16x32_fp8_fp8 v[128:131], a[36:37], v[92:93], v[128:131]// 000000012A4C: D3F30080 0E02B924
	v_mfma_f32_16x16x32_fp8_fp8 v[128:131], a[38:39], v[94:95], v[128:131]// 000000012A54: D3F30080 0E02BD26
	v_mfma_f32_16x16x32_fp8_fp8 v[132:135], a[40:41], v[88:89], 0// 000000012A5C: D3F30084 0A02B128
	v_mfma_f32_16x16x32_fp8_fp8 v[132:135], a[42:43], v[90:91], v[132:135]// 000000012A64: D3F30084 0E12B52A
	v_mfma_f32_16x16x32_fp8_fp8 v[132:135], a[44:45], v[92:93], v[132:135]// 000000012A6C: D3F30084 0E12B92C
	v_mfma_f32_16x16x32_fp8_fp8 v[132:135], a[46:47], v[94:95], v[132:135]// 000000012A74: D3F30084 0E12BD2E
	v_mfma_f32_16x16x32_fp8_fp8 v[136:139], a[48:49], v[88:89], 0// 000000012A7C: D3F30088 0A02B130
	v_mfma_f32_16x16x32_fp8_fp8 v[136:139], a[50:51], v[90:91], v[136:139]// 000000012A84: D3F30088 0E22B532
	v_mfma_f32_16x16x32_fp8_fp8 v[136:139], a[52:53], v[92:93], v[136:139]// 000000012A8C: D3F30088 0E22B934
	v_mfma_f32_16x16x32_fp8_fp8 v[136:139], a[54:55], v[94:95], v[136:139]// 000000012A94: D3F30088 0E22BD36
	v_mfma_f32_16x16x32_fp8_fp8 v[140:143], a[56:57], v[88:89], 0// 000000012A9C: D3F3008C 0A02B138
	v_mfma_f32_16x16x32_fp8_fp8 v[140:143], a[58:59], v[90:91], v[140:143]// 000000012AA4: D3F3008C 0E32B53A
	v_mfma_f32_16x16x32_fp8_fp8 v[140:143], a[60:61], v[92:93], v[140:143]// 000000012AAC: D3F3008C 0E32B93C
	v_mfma_f32_16x16x32_fp8_fp8 v[140:143], a[62:63], v[94:95], v[140:143]// 000000012AB4: D3F3008C 0E32BD3E
	v_mfma_f32_16x16x32_fp8_fp8 v[144:147], a[32:33], v[96:97], 0// 000000012ABC: D3F30090 0A02C120
	v_mfma_f32_16x16x32_fp8_fp8 v[144:147], a[34:35], v[98:99], v[144:147]// 000000012AC4: D3F30090 0E42C522
	v_mfma_f32_16x16x32_fp8_fp8 v[144:147], a[36:37], v[100:101], v[144:147]// 000000012ACC: D3F30090 0E42C924
	v_mfma_f32_16x16x32_fp8_fp8 v[144:147], a[38:39], v[102:103], v[144:147]// 000000012AD4: D3F30090 0E42CD26
	v_mfma_f32_16x16x32_fp8_fp8 v[148:151], a[40:41], v[96:97], 0// 000000012ADC: D3F30094 0A02C128
	v_mfma_f32_16x16x32_fp8_fp8 v[148:151], a[42:43], v[98:99], v[148:151]// 000000012AE4: D3F30094 0E52C52A
	v_mfma_f32_16x16x32_fp8_fp8 v[148:151], a[44:45], v[100:101], v[148:151]// 000000012AEC: D3F30094 0E52C92C
	v_mfma_f32_16x16x32_fp8_fp8 v[148:151], a[46:47], v[102:103], v[148:151]// 000000012AF4: D3F30094 0E52CD2E
	v_mfma_f32_16x16x32_fp8_fp8 v[152:155], a[48:49], v[96:97], 0// 000000012AFC: D3F30098 0A02C130
	v_mfma_f32_16x16x32_fp8_fp8 v[152:155], a[50:51], v[98:99], v[152:155]// 000000012B04: D3F30098 0E62C532
	v_mfma_f32_16x16x32_fp8_fp8 v[152:155], a[52:53], v[100:101], v[152:155]// 000000012B0C: D3F30098 0E62C934
	v_mfma_f32_16x16x32_fp8_fp8 v[152:155], a[54:55], v[102:103], v[152:155]// 000000012B14: D3F30098 0E62CD36
	v_mfma_f32_16x16x32_fp8_fp8 v[156:159], a[56:57], v[96:97], 0// 000000012B1C: D3F3009C 0A02C138
	v_mfma_f32_16x16x32_fp8_fp8 v[156:159], a[58:59], v[98:99], v[156:159]// 000000012B24: D3F3009C 0E72C53A
	v_mfma_f32_16x16x32_fp8_fp8 v[156:159], a[60:61], v[100:101], v[156:159]// 000000012B2C: D3F3009C 0E72C93C
	v_mfma_f32_16x16x32_fp8_fp8 v[156:159], a[62:63], v[102:103], v[156:159]// 000000012B34: D3F3009C 0E72CD3E
	buffer_load_dword v42, v2, s[32:35], 0 offen               // 000000012B3C: E0501000 80082A02
	v_mov_b32_dpp v64, v43 row_shr:4 row_mask:0xf bank_mask:0xf// 000000012B44: 7E8002FA FF01142B
	v_mov_b32_dpp v65, v43 row_shl:4 row_mask:0xf bank_mask:0xf// 000000012B4C: 7E8202FA FF01042B
	v_cndmask_b32_e64 v248, v43, v64, s[44:45]                 // 000000012B54: D10000F8 00B2812B
	v_cndmask_b32_e64 v249, v65, v43, s[44:45]                 // 000000012B5C: D10000F9 00B25741
	v_mov_b32_dpp v64, v248 row_shr:8 row_mask:0xf bank_mask:0xf// 000000012B64: 7E8002FA FF0118F8
	v_mov_b32_dpp v65, v248 row_shl:8 row_mask:0xf bank_mask:0xf// 000000012B6C: 7E8202FA FF0108F8
	v_mov_b32_dpp v66, v249 row_shr:8 row_mask:0xf bank_mask:0xf// 000000012B74: 7E8402FA FF0118F9
	v_mov_b32_dpp v67, v249 row_shl:8 row_mask:0xf bank_mask:0xf// 000000012B7C: 7E8602FA FF0108F9
	v_mov_b32_e32 v68, v248                                    // 000000012B84: 7E8803F8
	v_mov_b32_e32 v69, v249                                    // 000000012B88: 7E8A03F9
	v_cndmask_b32_e64 v248, v68, v64, s[42:43]                 // 000000012B8C: D10000F8 00AA8144
	v_cndmask_b32_e64 v250, v68, v65, s[78:79]                 // 000000012B94: D10000FA 013A8344
	v_cndmask_b32_e64 v249, v69, v66, s[42:43]                 // 000000012B9C: D10000F9 00AA8545
	v_cndmask_b32_e64 v251, v69, v67, s[78:79]                 // 000000012BA4: D10000FB 013A8745
	v_mov_b32_dpp v64, v58 row_shr:4 row_mask:0xf bank_mask:0xf// 000000012BAC: 7E8002FA FF01143A
	v_mov_b32_dpp v65, v58 row_shl:4 row_mask:0xf bank_mask:0xf// 000000012BB4: 7E8202FA FF01043A
	v_cndmask_b32_e64 v252, v58, v64, s[44:45]                 // 000000012BBC: D10000FC 00B2813A
	v_cndmask_b32_e64 v253, v65, v58, s[44:45]                 // 000000012BC4: D10000FD 00B27541
	v_mov_b32_dpp v64, v252 row_shr:8 row_mask:0xf bank_mask:0xf// 000000012BCC: 7E8002FA FF0118FC
	v_mov_b32_dpp v65, v252 row_shl:8 row_mask:0xf bank_mask:0xf// 000000012BD4: 7E8202FA FF0108FC
	v_mov_b32_dpp v66, v253 row_shr:8 row_mask:0xf bank_mask:0xf// 000000012BDC: 7E8402FA FF0118FD
	v_mov_b32_dpp v67, v253 row_shl:8 row_mask:0xf bank_mask:0xf// 000000012BE4: 7E8602FA FF0108FD
	v_mov_b32_e32 v68, v252                                    // 000000012BEC: 7E8803FC
	v_mov_b32_e32 v69, v253                                    // 000000012BF0: 7E8A03FD
	v_cndmask_b32_e64 v252, v68, v64, s[42:43]                 // 000000012BF4: D10000FC 00AA8144
	v_cndmask_b32_e64 v254, v68, v65, s[78:79]                 // 000000012BFC: D10000FE 013A8344
	v_cndmask_b32_e64 v253, v69, v66, s[42:43]                 // 000000012C04: D10000FD 00AA8545
	v_cndmask_b32_e64 v255, v69, v67, s[78:79]                 // 000000012C0C: D10000FF 013A8745
	buffer_load_dword v57, v55, s[36:39], 0 offen              // 000000012C14: E0501000 80093937
	v_mul_f32_e32 v112, v18, v112                              // 000000012C1C: 0AE0E112
	v_mul_f32_e32 v113, v18, v113                              // 000000012C20: 0AE2E312
	v_mul_f32_e32 v114, v18, v114                              // 000000012C24: 0AE4E512
	v_mul_f32_e32 v115, v18, v115                              // 000000012C28: 0AE6E712
	v_mul_f32_e32 v116, v18, v116                              // 000000012C2C: 0AE8E912
	v_mul_f32_e32 v117, v18, v117                              // 000000012C30: 0AEAEB12
	v_mul_f32_e32 v118, v18, v118                              // 000000012C34: 0AECED12
	v_mul_f32_e32 v119, v18, v119                              // 000000012C38: 0AEEEF12
	v_mul_f32_e32 v120, v18, v120                              // 000000012C3C: 0AF0F112
	v_mul_f32_e32 v121, v18, v121                              // 000000012C40: 0AF2F312
	v_mul_f32_e32 v122, v18, v122                              // 000000012C44: 0AF4F512
	v_mul_f32_e32 v123, v18, v123                              // 000000012C48: 0AF6F712
	v_mul_f32_e32 v124, v18, v124                              // 000000012C4C: 0AF8F912
	v_mul_f32_e32 v125, v18, v125                              // 000000012C50: 0AFAFB12
	v_mul_f32_e32 v126, v18, v126                              // 000000012C54: 0AFCFD12
	v_mul_f32_e32 v127, v18, v127                              // 000000012C58: 0AFEFF12
	buffer_load_dwordx4 a[16:19], v24, s[16:19], 0 offen       // 000000012C5C: E05C1000 80841018
	v_mul_f32_dpp v112, v248, v112 quad_perm:[0,0,0,0] row_mask:0xf bank_mask:0xf// 000000012C64: 0AE0E0FA FF0000F8
	v_mul_f32_dpp v113, v248, v113 quad_perm:[1,1,1,1] row_mask:0xf bank_mask:0xf// 000000012C6C: 0AE2E2FA FF0055F8
	v_mul_f32_dpp v114, v248, v114 quad_perm:[2,2,2,2] row_mask:0xf bank_mask:0xf// 000000012C74: 0AE4E4FA FF00AAF8
	v_mul_f32_dpp v115, v248, v115 quad_perm:[3,3,3,3] row_mask:0xf bank_mask:0xf// 000000012C7C: 0AE6E6FA FF00FFF8
	v_mul_f32_dpp v116, v249, v116 quad_perm:[0,0,0,0] row_mask:0xf bank_mask:0xf// 000000012C84: 0AE8E8FA FF0000F9
	v_mul_f32_dpp v117, v249, v117 quad_perm:[1,1,1,1] row_mask:0xf bank_mask:0xf// 000000012C8C: 0AEAEAFA FF0055F9
	v_mul_f32_dpp v118, v249, v118 quad_perm:[2,2,2,2] row_mask:0xf bank_mask:0xf// 000000012C94: 0AECECFA FF00AAF9
	v_mul_f32_dpp v119, v249, v119 quad_perm:[3,3,3,3] row_mask:0xf bank_mask:0xf// 000000012C9C: 0AEEEEFA FF00FFF9
	v_mul_f32_dpp v120, v250, v120 quad_perm:[0,0,0,0] row_mask:0xf bank_mask:0xf// 000000012CA4: 0AF0F0FA FF0000FA
	v_mul_f32_dpp v121, v250, v121 quad_perm:[1,1,1,1] row_mask:0xf bank_mask:0xf// 000000012CAC: 0AF2F2FA FF0055FA
	v_mul_f32_dpp v122, v250, v122 quad_perm:[2,2,2,2] row_mask:0xf bank_mask:0xf// 000000012CB4: 0AF4F4FA FF00AAFA
	v_mul_f32_dpp v123, v250, v123 quad_perm:[3,3,3,3] row_mask:0xf bank_mask:0xf// 000000012CBC: 0AF6F6FA FF00FFFA
	v_mul_f32_dpp v124, v251, v124 quad_perm:[0,0,0,0] row_mask:0xf bank_mask:0xf// 000000012CC4: 0AF8F8FA FF0000FB
	v_mul_f32_dpp v125, v251, v125 quad_perm:[1,1,1,1] row_mask:0xf bank_mask:0xf// 000000012CCC: 0AFAFAFA FF0055FB
	v_mul_f32_dpp v126, v251, v126 quad_perm:[2,2,2,2] row_mask:0xf bank_mask:0xf// 000000012CD4: 0AFCFCFA FF00AAFB
	v_mul_f32_dpp v127, v251, v127 quad_perm:[3,3,3,3] row_mask:0xf bank_mask:0xf// 000000012CDC: 0AFEFEFA FF00FFFB
	buffer_load_dwordx4 a[20:23], v24, s[16:19], 0 offen offset:1024// 000000012CE4: E05C1400 80841418
	s_cmp_le_i32 s90, s89                                      // 000000012CEC: BF05595A
	s_cbranch_scc1 label_432E                                  // 000000012CF0: BF850071
	v_mov_b32_e32 v66, 0xff800000                              // 000000012CF4: 7E8402FF FF800000
	s_mov_b32 s60, s90                                         // 000000012CFC: BEBC005A
	s_add_u32 s61, s89, 0xff                                   // 000000012D00: 803DFF59 000000FF
	v_mov_b32_e32 v64, s61                                     // 000000012D08: 7E80023D
	v_lshrrev_b32_e32 v240, 4, v0                              // 000000012D0C: 21E00084
	v_mul_i32_i24_e32 v240, 4, v240                            // 000000012D10: 0DE1E084
	v_add_u32_e32 v240, s60, v240                              // 000000012D14: 69E1E03C
	s_mov_b32 s61, 0                                           // 000000012D18: BEBD0080
	s_mul_i32 s60, 16, s7                                      // 000000012D1C: 923C0790
	v_sub_u32_e64 v240, v240, s61                              // 000000012D20: D13500F0 00007BF0
	v_add_u32_e32 v240, s60, v240                              // 000000012D28: 69E1E03C
	v_add_u32_e32 v241, 1, v240                                // 000000012D2C: 69E3E081
	v_add_u32_e32 v242, 2, v240                                // 000000012D30: 69E5E082
	v_add_u32_e32 v243, 3, v240                                // 000000012D34: 69E7E083
	v_cmp_le_u32_e64 s[40:41], v240, v64                       // 000000012D38: D0CB0028 000281F0
	v_add_u32_e32 v240, 64, v240                               // 000000012D40: 69E1E0C0
	s_nop 0                                                    // 000000012D44: BF800000
	v_cndmask_b32_e64 v112, v66, v112, s[40:41]                // 000000012D48: D1000070 00A2E142
	v_cmp_le_u32_e64 s[40:41], v241, v64                       // 000000012D50: D0CB0028 000281F1
	v_add_u32_e32 v241, 64, v241                               // 000000012D58: 69E3E2C0
	s_nop 0                                                    // 000000012D5C: BF800000
	v_cndmask_b32_e64 v113, v66, v113, s[40:41]                // 000000012D60: D1000071 00A2E342
	v_cmp_le_u32_e64 s[40:41], v242, v64                       // 000000012D68: D0CB0028 000281F2
	v_add_u32_e32 v242, 64, v242                               // 000000012D70: 69E5E4C0
	s_nop 0                                                    // 000000012D74: BF800000
	v_cndmask_b32_e64 v114, v66, v114, s[40:41]                // 000000012D78: D1000072 00A2E542
	v_cmp_le_u32_e64 s[40:41], v243, v64                       // 000000012D80: D0CB0028 000281F3
	v_add_u32_e32 v243, 64, v243                               // 000000012D88: 69E7E6C0
	s_nop 0                                                    // 000000012D8C: BF800000
	v_cndmask_b32_e64 v115, v66, v115, s[40:41]                // 000000012D90: D1000073 00A2E742
	v_cmp_le_u32_e64 s[40:41], v240, v64                       // 000000012D98: D0CB0028 000281F0
	v_add_u32_e32 v240, 64, v240                               // 000000012DA0: 69E1E0C0
	s_nop 0                                                    // 000000012DA4: BF800000
	v_cndmask_b32_e64 v116, v66, v116, s[40:41]                // 000000012DA8: D1000074 00A2E942
	v_cmp_le_u32_e64 s[40:41], v241, v64                       // 000000012DB0: D0CB0028 000281F1
	v_add_u32_e32 v241, 64, v241                               // 000000012DB8: 69E3E2C0
	s_nop 0                                                    // 000000012DBC: BF800000
	v_cndmask_b32_e64 v117, v66, v117, s[40:41]                // 000000012DC0: D1000075 00A2EB42
	v_cmp_le_u32_e64 s[40:41], v242, v64                       // 000000012DC8: D0CB0028 000281F2
	v_add_u32_e32 v242, 64, v242                               // 000000012DD0: 69E5E4C0
	s_nop 0                                                    // 000000012DD4: BF800000
	v_cndmask_b32_e64 v118, v66, v118, s[40:41]                // 000000012DD8: D1000076 00A2ED42
	v_cmp_le_u32_e64 s[40:41], v243, v64                       // 000000012DE0: D0CB0028 000281F3
	v_add_u32_e32 v243, 64, v243                               // 000000012DE8: 69E7E6C0
	s_nop 0                                                    // 000000012DEC: BF800000
	v_cndmask_b32_e64 v119, v66, v119, s[40:41]                // 000000012DF0: D1000077 00A2EF42
	v_cmp_le_u32_e64 s[40:41], v240, v64                       // 000000012DF8: D0CB0028 000281F0
	v_add_u32_e32 v240, 64, v240                               // 000000012E00: 69E1E0C0
	s_nop 0                                                    // 000000012E04: BF800000
	v_cndmask_b32_e64 v120, v66, v120, s[40:41]                // 000000012E08: D1000078 00A2F142
	v_cmp_le_u32_e64 s[40:41], v241, v64                       // 000000012E10: D0CB0028 000281F1
	v_add_u32_e32 v241, 64, v241                               // 000000012E18: 69E3E2C0
	s_nop 0                                                    // 000000012E1C: BF800000
	v_cndmask_b32_e64 v121, v66, v121, s[40:41]                // 000000012E20: D1000079 00A2F342
	v_cmp_le_u32_e64 s[40:41], v242, v64                       // 000000012E28: D0CB0028 000281F2
	v_add_u32_e32 v242, 64, v242                               // 000000012E30: 69E5E4C0
	s_nop 0                                                    // 000000012E34: BF800000
	v_cndmask_b32_e64 v122, v66, v122, s[40:41]                // 000000012E38: D100007A 00A2F542
	v_cmp_le_u32_e64 s[40:41], v243, v64                       // 000000012E40: D0CB0028 000281F3
	v_add_u32_e32 v243, 64, v243                               // 000000012E48: 69E7E6C0
	s_nop 0                                                    // 000000012E4C: BF800000
	v_cndmask_b32_e64 v123, v66, v123, s[40:41]                // 000000012E50: D100007B 00A2F742
	v_cmp_le_u32_e64 s[40:41], v240, v64                       // 000000012E58: D0CB0028 000281F0
	v_add_u32_e32 v240, 64, v240                               // 000000012E60: 69E1E0C0
	s_nop 0                                                    // 000000012E64: BF800000
	v_cndmask_b32_e64 v124, v66, v124, s[40:41]                // 000000012E68: D100007C 00A2F942
	v_cmp_le_u32_e64 s[40:41], v241, v64                       // 000000012E70: D0CB0028 000281F1
	v_add_u32_e32 v241, 64, v241                               // 000000012E78: 69E3E2C0
	s_nop 0                                                    // 000000012E7C: BF800000
	v_cndmask_b32_e64 v125, v66, v125, s[40:41]                // 000000012E80: D100007D 00A2FB42
	v_cmp_le_u32_e64 s[40:41], v242, v64                       // 000000012E88: D0CB0028 000281F2
	v_add_u32_e32 v242, 64, v242                               // 000000012E90: 69E5E4C0
	s_nop 0                                                    // 000000012E94: BF800000
	v_cndmask_b32_e64 v126, v66, v126, s[40:41]                // 000000012E98: D100007E 00A2FD42
	v_cmp_le_u32_e64 s[40:41], v243, v64                       // 000000012EA0: D0CB0028 000281F3
	v_add_u32_e32 v243, 64, v243                               // 000000012EA8: 69E7E6C0
	s_nop 0                                                    // 000000012EAC: BF800000
	v_cndmask_b32_e64 v127, v66, v127, s[40:41]                // 000000012EB0: D100007F 00A2FF42

0000000000012eb8 <label_432E>:
	v_mov_b32_e32 v48, v112                                    // 000000012EB8: 7E600370
	v_max3_f32 v48, v112, v113, v48                            // 000000012EBC: D1D30030 04C2E370
	v_max3_f32 v48, v114, v115, v48                            // 000000012EC4: D1D30030 04C2E772
	v_max3_f32 v48, v116, v117, v48                            // 000000012ECC: D1D30030 04C2EB74
	v_max3_f32 v48, v118, v119, v48                            // 000000012ED4: D1D30030 04C2EF76
	v_max3_f32 v48, v120, v121, v48                            // 000000012EDC: D1D30030 04C2F378
	v_max3_f32 v48, v122, v123, v48                            // 000000012EE4: D1D30030 04C2F77A
	v_max3_f32 v48, v124, v125, v48                            // 000000012EEC: D1D30030 04C2FB7C
	v_max3_f32 v48, v126, v127, v48                            // 000000012EF4: D1D30030 04C2FF7E
	ds_write_b32 v8, v48 offset:16896                          // 000000012EFC: D81A4200 00003008
	buffer_load_dwordx4 a[24:27], v25, s[16:19], 0 offen       // 000000012F04: E05C1000 80841819
	v_mul_u32_u24_dpp v64, v16, v54 row_newbcast:1 row_mask:0xf bank_mask:0xf// 000000012F0C: 10806CFA FF015110
	v_mul_u32_u24_dpp v65, v16, v54 row_newbcast:5 row_mask:0xf bank_mask:0xf// 000000012F14: 10826CFA FF015510
	v_mul_u32_u24_dpp v66, v16, v54 row_newbcast:9 row_mask:0xf bank_mask:0xf// 000000012F1C: 10846CFA FF015910
	v_mul_u32_u24_dpp v67, v16, v54 row_newbcast:13 row_mask:0xf bank_mask:0xf// 000000012F24: 10866CFA FF015D10
	v_add_u32_e32 v30, v64, v6                                 // 000000012F2C: 683C0D40
	v_add_u32_e32 v31, v65, v6                                 // 000000012F30: 683E0D41
	v_add_u32_e32 v32, v66, v6                                 // 000000012F34: 68400D42
	v_add_u32_e32 v33, v67, v6                                 // 000000012F38: 68420D43
	v_mul_f32_e32 v208, v49, v208                              // 000000012F3C: 0BA1A131
	v_mul_f32_e32 v209, v49, v209                              // 000000012F40: 0BA3A331
	v_mul_f32_e32 v210, v49, v210                              // 000000012F44: 0BA5A531
	v_mul_f32_e32 v211, v49, v211                              // 000000012F48: 0BA7A731
	v_mul_f32_e32 v212, v49, v212                              // 000000012F4C: 0BA9A931
	v_mul_f32_e32 v213, v49, v213                              // 000000012F50: 0BABAB31
	v_mul_f32_e32 v214, v49, v214                              // 000000012F54: 0BADAD31
	v_mul_f32_e32 v215, v49, v215                              // 000000012F58: 0BAFAF31
	s_waitcnt lgkmcnt(0)                                       // 000000012F5C: BF8CC07F
	s_barrier                                                  // 000000012F60: BF8A0000
	ds_read_b32 v64, v7 offset:16896                           // 000000012F64: D86C4200 40000007
	ds_read_b32 v65, v7 offset:16960                           // 000000012F6C: D86C4240 41000007
	ds_read_b32 v66, v7 offset:17024                           // 000000012F74: D86C4280 42000007
	ds_read_b32 v67, v7 offset:17088                           // 000000012F7C: D86C42C0 43000007
	ds_read_b32 v68, v7 offset:17152                           // 000000012F84: D86C4300 44000007
	ds_read_b32 v69, v7 offset:17216                           // 000000012F8C: D86C4340 45000007
	ds_read_b32 v70, v7 offset:17280                           // 000000012F94: D86C4380 46000007
	ds_read_b32 v71, v7 offset:17344                           // 000000012F9C: D86C43C0 47000007
	ds_read_b32 v72, v7 offset:17408                           // 000000012FA4: D86C4400 48000007
	ds_read_b32 v73, v7 offset:17472                           // 000000012FAC: D86C4440 49000007
	ds_read_b32 v74, v7 offset:17536                           // 000000012FB4: D86C4480 4A000007
	ds_read_b32 v75, v7 offset:17600                           // 000000012FBC: D86C44C0 4B000007
	ds_read_b32 v76, v7 offset:17664                           // 000000012FC4: D86C4500 4C000007
	ds_read_b32 v77, v7 offset:17728                           // 000000012FCC: D86C4540 4D000007
	ds_read_b32 v78, v7 offset:17792                           // 000000012FD4: D86C4580 4E000007
	ds_read_b32 v79, v7 offset:17856                           // 000000012FDC: D86C45C0 4F000007
	buffer_load_dwordx4 a[28:31], v25, s[16:19], 0 offen offset:1024// 000000012FE4: E05C1400 80841C19
	v_mul_f32_e32 v176, v44, v176                              // 000000012FEC: 0B61612C
	v_mul_f32_e32 v177, v44, v177                              // 000000012FF0: 0B63632C
	v_mul_f32_e32 v178, v44, v178                              // 000000012FF4: 0B65652C
	v_mul_f32_e32 v179, v44, v179                              // 000000012FF8: 0B67672C
	v_mul_f32_e32 v180, v44, v180                              // 000000012FFC: 0B69692C
	v_mul_f32_e32 v181, v44, v181                              // 000000013000: 0B6B6B2C
	v_mul_f32_e32 v182, v44, v182                              // 000000013004: 0B6D6D2C
	v_mul_f32_e32 v183, v44, v183                              // 000000013008: 0B6F6F2C
	s_waitcnt lgkmcnt(0)                                       // 00000001300C: BF8CC07F
	v_max3_f32 v48, v64, v65, v48                              // 000000013010: D1D30030 04C28340
	v_max3_f32 v48, v66, v67, v48                              // 000000013018: D1D30030 04C28742
	v_max3_f32 v48, v68, v69, v48                              // 000000013020: D1D30030 04C28B44
	v_max3_f32 v48, v70, v71, v48                              // 000000013028: D1D30030 04C28F46
	v_max3_f32 v48, v72, v73, v48                              // 000000013030: D1D30030 04C29348
	v_max3_f32 v48, v74, v75, v48                              // 000000013038: D1D30030 04C2974A
	v_max3_f32 v48, v76, v77, v48                              // 000000013040: D1D30030 04C29B4C
	v_max3_f32 v48, v78, v79, v48                              // 000000013048: D1D30030 04C29F4E
	buffer_load_dwordx4 a[64:67], v30, s[20:23], 0 offen       // 000000013050: E05C1000 8085401E
	v_mov_b32_e32 v64, 0xff800000                              // 000000013058: 7E8002FF FF800000
	v_cmp_eq_u32_e64 s[40:41], v64, v11                        // 000000013060: D0CA0028 00021740
	s_nop 1                                                    // 000000013068: BF800001
	v_max_f32_e32 v15, v48, v11                                // 00000001306C: 161E1730
	v_mul_f32_e32 v53, s64, v15                                // 000000013070: 0A6A1E40
	v_fma_f32 v112, v112, s64, -v53                            // 000000013074: D1CB0070 84D48170
	v_fma_f32 v113, v113, s64, -v53                            // 00000001307C: D1CB0071 84D48171
	v_fma_f32 v114, v114, s64, -v53                            // 000000013084: D1CB0072 84D48172
	v_fma_f32 v115, v115, s64, -v53                            // 00000001308C: D1CB0073 84D48173
	v_fma_f32 v116, v116, s64, -v53                            // 000000013094: D1CB0074 84D48174
	v_fma_f32 v117, v117, s64, -v53                            // 00000001309C: D1CB0075 84D48175
	v_fma_f32 v118, v118, s64, -v53                            // 0000000130A4: D1CB0076 84D48176
	v_fma_f32 v119, v119, s64, -v53                            // 0000000130AC: D1CB0077 84D48177
	v_fma_f32 v120, v120, s64, -v53                            // 0000000130B4: D1CB0078 84D48178
	v_fma_f32 v121, v121, s64, -v53                            // 0000000130BC: D1CB0079 84D48179
	v_fma_f32 v122, v122, s64, -v53                            // 0000000130C4: D1CB007A 84D4817A
	v_fma_f32 v123, v123, s64, -v53                            // 0000000130CC: D1CB007B 84D4817B
	v_fma_f32 v124, v124, s64, -v53                            // 0000000130D4: D1CB007C 84D4817C
	v_fma_f32 v125, v125, s64, -v53                            // 0000000130DC: D1CB007D 84D4817D
	v_fma_f32 v126, v126, s64, -v53                            // 0000000130E4: D1CB007E 84D4817E
	v_fma_f32 v127, v127, s64, -v53                            // 0000000130EC: D1CB007F 84D4817F
	buffer_load_dwordx4 a[68:71], v31, s[20:23], 0 offen       // 0000000130F4: E05C1000 8085441F
	v_exp_f32_e32 v112, v112                                   // 0000000130FC: 7EE04170
	v_exp_f32_e32 v113, v113                                   // 000000013100: 7EE24171
	v_exp_f32_e32 v114, v114                                   // 000000013104: 7EE44172
	v_exp_f32_e32 v115, v115                                   // 000000013108: 7EE64173
	v_exp_f32_e32 v116, v116                                   // 00000001310C: 7EE84174
	v_exp_f32_e32 v117, v117                                   // 000000013110: 7EEA4175
	v_exp_f32_e32 v118, v118                                   // 000000013114: 7EEC4176
	v_exp_f32_e32 v119, v119                                   // 000000013118: 7EEE4177
	v_exp_f32_e32 v120, v120                                   // 00000001311C: 7EF04178
	v_exp_f32_e32 v121, v121                                   // 000000013120: 7EF24179
	v_exp_f32_e32 v122, v122                                   // 000000013124: 7EF4417A
	v_exp_f32_e32 v123, v123                                   // 000000013128: 7EF6417B
	v_exp_f32_e32 v124, v124                                   // 00000001312C: 7EF8417C
	v_exp_f32_e32 v125, v125                                   // 000000013130: 7EFA417D
	v_exp_f32_e32 v126, v126                                   // 000000013134: 7EFC417E
	v_exp_f32_e32 v127, v127                                   // 000000013138: 7EFE417F
	buffer_load_dwordx4 a[72:75], v32, s[20:23], 0 offen       // 00000001313C: E05C1000 80854820
	v_mul_f32_dpp v240, v252, v112 quad_perm:[0,0,0,0] row_mask:0xf bank_mask:0xf// 000000013144: 0BE0E0FA FF0000FC
	v_mul_f32_dpp v241, v252, v113 quad_perm:[1,1,1,1] row_mask:0xf bank_mask:0xf// 00000001314C: 0BE2E2FA FF0055FC
	v_mul_f32_dpp v242, v252, v114 quad_perm:[2,2,2,2] row_mask:0xf bank_mask:0xf// 000000013154: 0BE4E4FA FF00AAFC
	v_mul_f32_dpp v243, v252, v115 quad_perm:[3,3,3,3] row_mask:0xf bank_mask:0xf// 00000001315C: 0BE6E6FA FF00FFFC
	v_mul_f32_dpp v244, v253, v116 quad_perm:[0,0,0,0] row_mask:0xf bank_mask:0xf// 000000013164: 0BE8E8FA FF0000FD
	v_mul_f32_dpp v245, v253, v117 quad_perm:[1,1,1,1] row_mask:0xf bank_mask:0xf// 00000001316C: 0BEAEAFA FF0055FD
	v_mul_f32_dpp v246, v253, v118 quad_perm:[2,2,2,2] row_mask:0xf bank_mask:0xf// 000000013174: 0BECECFA FF00AAFD
	v_mul_f32_dpp v247, v253, v119 quad_perm:[3,3,3,3] row_mask:0xf bank_mask:0xf// 00000001317C: 0BEEEEFA FF00FFFD
	v_mul_f32_dpp v248, v254, v120 quad_perm:[0,0,0,0] row_mask:0xf bank_mask:0xf// 000000013184: 0BF0F0FA FF0000FE
	v_mul_f32_dpp v249, v254, v121 quad_perm:[1,1,1,1] row_mask:0xf bank_mask:0xf// 00000001318C: 0BF2F2FA FF0055FE
	v_mul_f32_dpp v250, v254, v122 quad_perm:[2,2,2,2] row_mask:0xf bank_mask:0xf// 000000013194: 0BF4F4FA FF00AAFE
	v_mul_f32_dpp v251, v254, v123 quad_perm:[3,3,3,3] row_mask:0xf bank_mask:0xf// 00000001319C: 0BF6F6FA FF00FFFE
	v_mul_f32_dpp v252, v255, v124 quad_perm:[0,0,0,0] row_mask:0xf bank_mask:0xf// 0000000131A4: 0BF8F8FA FF0000FF
	v_mul_f32_dpp v253, v255, v125 quad_perm:[1,1,1,1] row_mask:0xf bank_mask:0xf// 0000000131AC: 0BFAFAFA FF0055FF
	v_mul_f32_dpp v254, v255, v126 quad_perm:[2,2,2,2] row_mask:0xf bank_mask:0xf// 0000000131B4: 0BFCFCFA FF00AAFF
	v_mul_f32_dpp v255, v255, v127 quad_perm:[3,3,3,3] row_mask:0xf bank_mask:0xf// 0000000131BC: 0BFEFEFA FF00FFFF
	v_mov_b32_e32 v48, 0x358637bd                              // 0000000131C4: 7E6002FF 358637BD
	v_max3_f32 v48, |v240|, |v241|, v48                        // 0000000131CC: D1D30330 04C3E3F0
	v_max3_f32 v48, |v242|, |v243|, v48                        // 0000000131D4: D1D30330 04C3E7F2
	v_max3_f32 v48, |v244|, |v245|, v48                        // 0000000131DC: D1D30330 04C3EBF4
	v_max3_f32 v48, |v246|, |v247|, v48                        // 0000000131E4: D1D30330 04C3EFF6
	v_max3_f32 v48, |v248|, |v249|, v48                        // 0000000131EC: D1D30330 04C3F3F8
	v_max3_f32 v48, |v250|, |v251|, v48                        // 0000000131F4: D1D30330 04C3F7FA
	v_max3_f32 v48, |v252|, |v253|, v48                        // 0000000131FC: D1D30330 04C3FBFC
	v_max3_f32 v48, |v254|, |v255|, v48                        // 000000013204: D1D30330 04C3FFFE
	buffer_load_dwordx4 a[76:79], v33, s[20:23], 0 offen       // 00000001320C: E05C1000 80854C21
	ds_write_b32 v8, v48 offset:20992                          // 000000013214: D81A5200 00003008
	v_sub_f32_e32 v49, v11, v15                                // 00000001321C: 04621F0B
	v_cndmask_b32_e64 v49, v49, 0, s[40:41]                    // 000000013220: D1000031 00A10131
	v_mov_b32_e32 v11, v15                                     // 000000013228: 7E16030F
	v_mul_f32_e32 v49, s64, v49                                // 00000001322C: 0A626240
	v_exp_f32_e32 v49, v49                                     // 000000013230: 7E624131
	s_waitcnt lgkmcnt(0)                                       // 000000013234: BF8CC07F
	s_barrier                                                  // 000000013238: BF8A0000
	ds_read_b32 v64, v7 offset:20992                           // 00000001323C: D86C5200 40000007
	ds_read_b32 v65, v7 offset:21056                           // 000000013244: D86C5240 41000007
	ds_read_b32 v66, v7 offset:21120                           // 00000001324C: D86C5280 42000007
	ds_read_b32 v67, v7 offset:21184                           // 000000013254: D86C52C0 43000007
	ds_read_b32 v68, v7 offset:21248                           // 00000001325C: D86C5300 44000007
	ds_read_b32 v69, v7 offset:21312                           // 000000013264: D86C5340 45000007
	ds_read_b32 v70, v7 offset:21376                           // 00000001326C: D86C5380 46000007
	ds_read_b32 v71, v7 offset:21440                           // 000000013274: D86C53C0 47000007
	ds_read_b32 v72, v7 offset:21504                           // 00000001327C: D86C5400 48000007
	ds_read_b32 v73, v7 offset:21568                           // 000000013284: D86C5440 49000007
	ds_read_b32 v74, v7 offset:21632                           // 00000001328C: D86C5480 4A000007
	ds_read_b32 v75, v7 offset:21696                           // 000000013294: D86C54C0 4B000007
	ds_read_b32 v76, v7 offset:21760                           // 00000001329C: D86C5500 4C000007
	ds_read_b32 v77, v7 offset:21824                           // 0000000132A4: D86C5540 4D000007
	ds_read_b32 v78, v7 offset:21888                           // 0000000132AC: D86C5580 4E000007
	ds_read_b32 v79, v7 offset:21952                           // 0000000132B4: D86C55C0 4F000007
	v_mul_f32_e32 v38, v49, v38                                // 0000000132BC: 0A4C4D31
	v_mov_b32_e32 v15, v112                                    // 0000000132C0: 7E1E0370
	v_add_f32_e32 v15, v113, v15                               // 0000000132C4: 021E1F71
	v_add_f32_e32 v15, v114, v15                               // 0000000132C8: 021E1F72
	v_add_f32_e32 v15, v115, v15                               // 0000000132CC: 021E1F73
	v_add_f32_e32 v15, v116, v15                               // 0000000132D0: 021E1F74
	v_add_f32_e32 v15, v117, v15                               // 0000000132D4: 021E1F75
	v_add_f32_e32 v15, v118, v15                               // 0000000132D8: 021E1F76
	v_add_f32_e32 v15, v119, v15                               // 0000000132DC: 021E1F77
	v_add_f32_e32 v15, v120, v15                               // 0000000132E0: 021E1F78
	v_add_f32_e32 v15, v121, v15                               // 0000000132E4: 021E1F79
	v_add_f32_e32 v15, v122, v15                               // 0000000132E8: 021E1F7A
	v_add_f32_e32 v15, v123, v15                               // 0000000132EC: 021E1F7B
	v_add_f32_e32 v15, v124, v15                               // 0000000132F0: 021E1F7C
	v_add_f32_e32 v15, v125, v15                               // 0000000132F4: 021E1F7D
	v_add_f32_e32 v15, v126, v15                               // 0000000132F8: 021E1F7E
	v_add_f32_e32 v15, v127, v15                               // 0000000132FC: 021E1F7F
	v_add_f32_e32 v38, v15, v38                                // 000000013300: 024C4D0F
	s_waitcnt lgkmcnt(0)                                       // 000000013304: BF8CC07F
	v_max3_f32 v48, |v64|, |v65|, v48                          // 000000013308: D1D30330 04C28340
	v_max3_f32 v48, |v66|, |v67|, v48                          // 000000013310: D1D30330 04C28742
	v_max3_f32 v48, |v68|, |v69|, v48                          // 000000013318: D1D30330 04C28B44
	v_max3_f32 v48, |v70|, |v71|, v48                          // 000000013320: D1D30330 04C28F46
	v_max3_f32 v48, |v72|, |v73|, v48                          // 000000013328: D1D30330 04C29348
	v_max3_f32 v48, |v74|, |v75|, v48                          // 000000013330: D1D30330 04C2974A
	v_max3_f32 v48, |v76|, |v77|, v48                          // 000000013338: D1D30330 04C29B4C
	v_max3_f32 v48, |v78|, |v79|, v48                          // 000000013340: D1D30330 04C29F4E
	s_nop 2                                                    // 000000013348: BF800002
	v_rcp_f32_e32 v48, v48                                     // 00000001334C: 7E604530
	s_nop 1                                                    // 000000013350: BF800001
	v_mul_f32_e32 v48, 0x43e00000, v48                         // 000000013354: 0A6060FF 43E00000
	v_mul_f32_e32 v112, v48, v240                              // 00000001335C: 0AE1E130
	v_mul_f32_e32 v113, v48, v241                              // 000000013360: 0AE3E330
	v_mul_f32_e32 v114, v48, v242                              // 000000013364: 0AE5E530
	v_mul_f32_e32 v115, v48, v243                              // 000000013368: 0AE7E730
	v_mul_f32_e32 v116, v48, v244                              // 00000001336C: 0AE9E930
	v_mul_f32_e32 v117, v48, v245                              // 000000013370: 0AEBEB30
	v_mul_f32_e32 v118, v48, v246                              // 000000013374: 0AEDED30
	v_mul_f32_e32 v119, v48, v247                              // 000000013378: 0AEFEF30
	v_mul_f32_e32 v120, v48, v248                              // 00000001337C: 0AF1F130
	v_mul_f32_e32 v121, v48, v249                              // 000000013380: 0AF3F330
	v_mul_f32_e32 v122, v48, v250                              // 000000013384: 0AF5F530
	v_mul_f32_e32 v123, v48, v251                              // 000000013388: 0AF7F730
	v_mul_f32_e32 v124, v48, v252                              // 00000001338C: 0AF9F930
	v_mul_f32_e32 v125, v48, v253                              // 000000013390: 0AFBFB30
	v_mul_f32_e32 v126, v48, v254                              // 000000013394: 0AFDFD30
	v_mul_f32_e32 v127, v48, v255                              // 000000013398: 0AFFFF30
	v_cvt_pk_fp8_f32 v112, v112, v113                          // 00000001339C: D2A20070 0002E370
	v_cvt_pk_fp8_f32 v112, v114, v115 op_sel:[0,0,1]           // 0000000133A4: D2A24070 0002E772
	v_cvt_pk_fp8_f32 v113, v116, v117                          // 0000000133AC: D2A20071 0002EB74
	v_cvt_pk_fp8_f32 v113, v118, v119 op_sel:[0,0,1]           // 0000000133B4: D2A24071 0002EF76
	v_cvt_pk_fp8_f32 v114, v120, v121                          // 0000000133BC: D2A20072 0002F378
	v_cvt_pk_fp8_f32 v114, v122, v123 op_sel:[0,0,1]           // 0000000133C4: D2A24072 0002F77A
	v_cvt_pk_fp8_f32 v115, v124, v125                          // 0000000133CC: D2A20073 0002FB7C
	v_cvt_pk_fp8_f32 v115, v126, v127 op_sel:[0,0,1]           // 0000000133D4: D2A24073 0002FF7E
	ds_write_b32 v10, v112 offset:25088                        // 0000000133DC: D81A6200 0000700A
	ds_write_b32 v10, v113 offset:26112                        // 0000000133E4: D81A6600 0000710A
	ds_write_b32 v10, v114 offset:27136                        // 0000000133EC: D81A6A00 0000720A
	ds_write_b32 v10, v115 offset:28160                        // 0000000133F4: D81A6E00 0000730A
	v_add_f32_e32 v208, v208, v176                             // 0000000133FC: 03A161D0
	v_add_f32_e32 v209, v209, v177                             // 000000013400: 03A363D1
	v_add_f32_e32 v210, v210, v178                             // 000000013404: 03A565D2
	v_add_f32_e32 v211, v211, v179                             // 000000013408: 03A767D3
	v_add_f32_e32 v212, v212, v180                             // 00000001340C: 03A969D4
	v_add_f32_e32 v213, v213, v181                             // 000000013410: 03AB6BD5
	v_add_f32_e32 v214, v214, v182                             // 000000013414: 03AD6DD6
	v_add_f32_e32 v215, v215, v183                             // 000000013418: 03AF6FD7
	v_rcp_f32_e32 v44, v48                                     // 00000001341C: 7E584530
	s_waitcnt lgkmcnt(0)                                       // 000000013420: BF8CC07F
	s_barrier                                                  // 000000013424: BF8A0000
	ds_read_b64 v[112:113], v9 offset:25088                    // 000000013428: D8EC6200 70000009
	ds_read_b64 v[114:115], v9 offset:25216                    // 000000013430: D8EC6280 72000009
	ds_read_b64 v[116:117], v9 offset:26112                    // 000000013438: D8EC6600 74000009
	ds_read_b64 v[118:119], v9 offset:26240                    // 000000013440: D8EC6680 76000009
	ds_read_b64 v[120:121], v9 offset:27136                    // 000000013448: D8EC6A00 78000009
	ds_read_b64 v[122:123], v9 offset:27264                    // 000000013450: D8EC6A80 7A000009
	ds_read_b64 v[124:125], v9 offset:28160                    // 000000013458: D8EC6E00 7C000009
	ds_read_b64 v[126:127], v9 offset:28288                    // 000000013460: D8EC6E80 7E000009
	v_mov_b32_dpp v64, v43 row_shr:4 row_mask:0xf bank_mask:0xf// 000000013468: 7E8002FA FF01142B
	v_mov_b32_dpp v65, v43 row_shl:4 row_mask:0xf bank_mask:0xf// 000000013470: 7E8202FA FF01042B
	v_cndmask_b32_e64 v248, v43, v64, s[44:45]                 // 000000013478: D10000F8 00B2812B
	v_cndmask_b32_e64 v249, v65, v43, s[44:45]                 // 000000013480: D10000F9 00B25741
	v_mov_b32_dpp v64, v248 row_shr:8 row_mask:0xf bank_mask:0xf// 000000013488: 7E8002FA FF0118F8
	v_mov_b32_dpp v65, v248 row_shl:8 row_mask:0xf bank_mask:0xf// 000000013490: 7E8202FA FF0108F8
	v_mov_b32_dpp v66, v249 row_shr:8 row_mask:0xf bank_mask:0xf// 000000013498: 7E8402FA FF0118F9
	v_mov_b32_dpp v67, v249 row_shl:8 row_mask:0xf bank_mask:0xf// 0000000134A0: 7E8602FA FF0108F9
	v_mov_b32_e32 v68, v248                                    // 0000000134A8: 7E8803F8
	v_mov_b32_e32 v69, v249                                    // 0000000134AC: 7E8A03F9
	v_cndmask_b32_e64 v248, v68, v64, s[42:43]                 // 0000000134B0: D10000F8 00AA8144
	v_cndmask_b32_e64 v250, v68, v65, s[78:79]                 // 0000000134B8: D10000FA 013A8344
	v_cndmask_b32_e64 v249, v69, v66, s[42:43]                 // 0000000134C0: D10000F9 00AA8545
	v_cndmask_b32_e64 v251, v69, v67, s[78:79]                 // 0000000134C8: D10000FB 013A8745
	v_mov_b32_dpp v64, v58 row_shr:4 row_mask:0xf bank_mask:0xf// 0000000134D0: 7E8002FA FF01143A
	v_mov_b32_dpp v65, v58 row_shl:4 row_mask:0xf bank_mask:0xf// 0000000134D8: 7E8202FA FF01043A
	v_cndmask_b32_e64 v252, v58, v64, s[44:45]                 // 0000000134E0: D10000FC 00B2813A
	v_cndmask_b32_e64 v253, v65, v58, s[44:45]                 // 0000000134E8: D10000FD 00B27541
	v_mov_b32_dpp v64, v252 row_shr:8 row_mask:0xf bank_mask:0xf// 0000000134F0: 7E8002FA FF0118FC
	v_mov_b32_dpp v65, v252 row_shl:8 row_mask:0xf bank_mask:0xf// 0000000134F8: 7E8202FA FF0108FC
	v_mov_b32_dpp v66, v253 row_shr:8 row_mask:0xf bank_mask:0xf// 000000013500: 7E8402FA FF0118FD
	v_mov_b32_dpp v67, v253 row_shl:8 row_mask:0xf bank_mask:0xf// 000000013508: 7E8602FA FF0108FD
	v_mov_b32_e32 v68, v252                                    // 000000013510: 7E8803FC
	v_mov_b32_e32 v69, v253                                    // 000000013514: 7E8A03FD
	v_cndmask_b32_e64 v252, v68, v64, s[42:43]                 // 000000013518: D10000FC 00AA8144
	v_cndmask_b32_e64 v254, v68, v65, s[78:79]                 // 000000013520: D10000FE 013A8344
	v_cndmask_b32_e64 v253, v69, v66, s[42:43]                 // 000000013528: D10000FD 00AA8545
	v_cndmask_b32_e64 v255, v69, v67, s[78:79]                 // 000000013530: D10000FF 013A8745
	v_mul_f32_e32 v128, v19, v128                              // 000000013538: 0B010113
	v_mul_f32_e32 v129, v19, v129                              // 00000001353C: 0B030313
	v_mul_f32_e32 v130, v19, v130                              // 000000013540: 0B050513
	v_mul_f32_e32 v131, v19, v131                              // 000000013544: 0B070713
	v_mul_f32_e32 v132, v19, v132                              // 000000013548: 0B090913
	v_mul_f32_e32 v133, v19, v133                              // 00000001354C: 0B0B0B13
	v_mul_f32_e32 v134, v19, v134                              // 000000013550: 0B0D0D13
	v_mul_f32_e32 v135, v19, v135                              // 000000013554: 0B0F0F13
	v_mul_f32_e32 v136, v19, v136                              // 000000013558: 0B111113
	v_mul_f32_e32 v137, v19, v137                              // 00000001355C: 0B131313
	v_mul_f32_e32 v138, v19, v138                              // 000000013560: 0B151513
	v_mul_f32_e32 v139, v19, v139                              // 000000013564: 0B171713
	v_mul_f32_e32 v140, v19, v140                              // 000000013568: 0B191913
	v_mul_f32_e32 v141, v19, v141                              // 00000001356C: 0B1B1B13
	v_mul_f32_e32 v142, v19, v142                              // 000000013570: 0B1D1D13
	v_mul_f32_e32 v143, v19, v143                              // 000000013574: 0B1F1F13
	v_mul_f32_dpp v128, v248, v128 quad_perm:[0,0,0,0] row_mask:0xf bank_mask:0xf// 000000013578: 0B0100FA FF0000F8
	v_mul_f32_dpp v129, v248, v129 quad_perm:[1,1,1,1] row_mask:0xf bank_mask:0xf// 000000013580: 0B0302FA FF0055F8
	v_mul_f32_dpp v130, v248, v130 quad_perm:[2,2,2,2] row_mask:0xf bank_mask:0xf// 000000013588: 0B0504FA FF00AAF8
	v_mul_f32_dpp v131, v248, v131 quad_perm:[3,3,3,3] row_mask:0xf bank_mask:0xf// 000000013590: 0B0706FA FF00FFF8
	v_mul_f32_dpp v132, v249, v132 quad_perm:[0,0,0,0] row_mask:0xf bank_mask:0xf// 000000013598: 0B0908FA FF0000F9
	v_mul_f32_dpp v133, v249, v133 quad_perm:[1,1,1,1] row_mask:0xf bank_mask:0xf// 0000000135A0: 0B0B0AFA FF0055F9
	v_mul_f32_dpp v134, v249, v134 quad_perm:[2,2,2,2] row_mask:0xf bank_mask:0xf// 0000000135A8: 0B0D0CFA FF00AAF9
	v_mul_f32_dpp v135, v249, v135 quad_perm:[3,3,3,3] row_mask:0xf bank_mask:0xf// 0000000135B0: 0B0F0EFA FF00FFF9
	v_mul_f32_dpp v136, v250, v136 quad_perm:[0,0,0,0] row_mask:0xf bank_mask:0xf// 0000000135B8: 0B1110FA FF0000FA
	v_mul_f32_dpp v137, v250, v137 quad_perm:[1,1,1,1] row_mask:0xf bank_mask:0xf// 0000000135C0: 0B1312FA FF0055FA
	v_mul_f32_dpp v138, v250, v138 quad_perm:[2,2,2,2] row_mask:0xf bank_mask:0xf// 0000000135C8: 0B1514FA FF00AAFA
	v_mul_f32_dpp v139, v250, v139 quad_perm:[3,3,3,3] row_mask:0xf bank_mask:0xf// 0000000135D0: 0B1716FA FF00FFFA
	v_mul_f32_dpp v140, v251, v140 quad_perm:[0,0,0,0] row_mask:0xf bank_mask:0xf// 0000000135D8: 0B1918FA FF0000FB
	v_mul_f32_dpp v141, v251, v141 quad_perm:[1,1,1,1] row_mask:0xf bank_mask:0xf// 0000000135E0: 0B1B1AFA FF0055FB
	v_mul_f32_dpp v142, v251, v142 quad_perm:[2,2,2,2] row_mask:0xf bank_mask:0xf// 0000000135E8: 0B1D1CFA FF00AAFB
	v_mul_f32_dpp v143, v251, v143 quad_perm:[3,3,3,3] row_mask:0xf bank_mask:0xf// 0000000135F0: 0B1F1EFA FF00FFFB
	s_cmp_le_i32 s90, s89                                      // 0000000135F8: BF05595A
	s_cbranch_scc1 label_4571                                  // 0000000135FC: BF850071
	v_mov_b32_e32 v66, 0xff800000                              // 000000013600: 7E8402FF FF800000
	s_mov_b32 s60, s90                                         // 000000013608: BEBC005A
	s_add_u32 s61, s89, 0xff                                   // 00000001360C: 803DFF59 000000FF
	v_mov_b32_e32 v64, s61                                     // 000000013614: 7E80023D
	v_lshrrev_b32_e32 v240, 4, v0                              // 000000013618: 21E00084
	v_mul_i32_i24_e32 v240, 4, v240                            // 00000001361C: 0DE1E084
	v_add_u32_e32 v240, s60, v240                              // 000000013620: 69E1E03C
	s_mov_b32 s61, 1                                           // 000000013624: BEBD0081
	s_mul_i32 s60, 16, s7                                      // 000000013628: 923C0790
	v_sub_u32_e64 v240, v240, s61                              // 00000001362C: D13500F0 00007BF0
	v_add_u32_e32 v240, s60, v240                              // 000000013634: 69E1E03C
	v_add_u32_e32 v241, 1, v240                                // 000000013638: 69E3E081
	v_add_u32_e32 v242, 2, v240                                // 00000001363C: 69E5E082
	v_add_u32_e32 v243, 3, v240                                // 000000013640: 69E7E083
	v_cmp_le_u32_e64 s[40:41], v240, v64                       // 000000013644: D0CB0028 000281F0
	v_add_u32_e32 v240, 64, v240                               // 00000001364C: 69E1E0C0
	s_nop 0                                                    // 000000013650: BF800000
	v_cndmask_b32_e64 v128, v66, v128, s[40:41]                // 000000013654: D1000080 00A30142
	v_cmp_le_u32_e64 s[40:41], v241, v64                       // 00000001365C: D0CB0028 000281F1
	v_add_u32_e32 v241, 64, v241                               // 000000013664: 69E3E2C0
	s_nop 0                                                    // 000000013668: BF800000
	v_cndmask_b32_e64 v129, v66, v129, s[40:41]                // 00000001366C: D1000081 00A30342
	v_cmp_le_u32_e64 s[40:41], v242, v64                       // 000000013674: D0CB0028 000281F2
	v_add_u32_e32 v242, 64, v242                               // 00000001367C: 69E5E4C0
	s_nop 0                                                    // 000000013680: BF800000
	v_cndmask_b32_e64 v130, v66, v130, s[40:41]                // 000000013684: D1000082 00A30542
	v_cmp_le_u32_e64 s[40:41], v243, v64                       // 00000001368C: D0CB0028 000281F3
	v_add_u32_e32 v243, 64, v243                               // 000000013694: 69E7E6C0
	s_nop 0                                                    // 000000013698: BF800000
	v_cndmask_b32_e64 v131, v66, v131, s[40:41]                // 00000001369C: D1000083 00A30742
	v_cmp_le_u32_e64 s[40:41], v240, v64                       // 0000000136A4: D0CB0028 000281F0
	v_add_u32_e32 v240, 64, v240                               // 0000000136AC: 69E1E0C0
	s_nop 0                                                    // 0000000136B0: BF800000
	v_cndmask_b32_e64 v132, v66, v132, s[40:41]                // 0000000136B4: D1000084 00A30942
	v_cmp_le_u32_e64 s[40:41], v241, v64                       // 0000000136BC: D0CB0028 000281F1
	v_add_u32_e32 v241, 64, v241                               // 0000000136C4: 69E3E2C0
	s_nop 0                                                    // 0000000136C8: BF800000
	v_cndmask_b32_e64 v133, v66, v133, s[40:41]                // 0000000136CC: D1000085 00A30B42
	v_cmp_le_u32_e64 s[40:41], v242, v64                       // 0000000136D4: D0CB0028 000281F2
	v_add_u32_e32 v242, 64, v242                               // 0000000136DC: 69E5E4C0
	s_nop 0                                                    // 0000000136E0: BF800000
	v_cndmask_b32_e64 v134, v66, v134, s[40:41]                // 0000000136E4: D1000086 00A30D42
	v_cmp_le_u32_e64 s[40:41], v243, v64                       // 0000000136EC: D0CB0028 000281F3
	v_add_u32_e32 v243, 64, v243                               // 0000000136F4: 69E7E6C0
	s_nop 0                                                    // 0000000136F8: BF800000
	v_cndmask_b32_e64 v135, v66, v135, s[40:41]                // 0000000136FC: D1000087 00A30F42
	v_cmp_le_u32_e64 s[40:41], v240, v64                       // 000000013704: D0CB0028 000281F0
	v_add_u32_e32 v240, 64, v240                               // 00000001370C: 69E1E0C0
	s_nop 0                                                    // 000000013710: BF800000
	v_cndmask_b32_e64 v136, v66, v136, s[40:41]                // 000000013714: D1000088 00A31142
	v_cmp_le_u32_e64 s[40:41], v241, v64                       // 00000001371C: D0CB0028 000281F1
	v_add_u32_e32 v241, 64, v241                               // 000000013724: 69E3E2C0
	s_nop 0                                                    // 000000013728: BF800000
	v_cndmask_b32_e64 v137, v66, v137, s[40:41]                // 00000001372C: D1000089 00A31342
	v_cmp_le_u32_e64 s[40:41], v242, v64                       // 000000013734: D0CB0028 000281F2
	v_add_u32_e32 v242, 64, v242                               // 00000001373C: 69E5E4C0
	s_nop 0                                                    // 000000013740: BF800000
	v_cndmask_b32_e64 v138, v66, v138, s[40:41]                // 000000013744: D100008A 00A31542
	v_cmp_le_u32_e64 s[40:41], v243, v64                       // 00000001374C: D0CB0028 000281F3
	v_add_u32_e32 v243, 64, v243                               // 000000013754: 69E7E6C0
	s_nop 0                                                    // 000000013758: BF800000
	v_cndmask_b32_e64 v139, v66, v139, s[40:41]                // 00000001375C: D100008B 00A31742
	v_cmp_le_u32_e64 s[40:41], v240, v64                       // 000000013764: D0CB0028 000281F0
	v_add_u32_e32 v240, 64, v240                               // 00000001376C: 69E1E0C0
	s_nop 0                                                    // 000000013770: BF800000
	v_cndmask_b32_e64 v140, v66, v140, s[40:41]                // 000000013774: D100008C 00A31942
	v_cmp_le_u32_e64 s[40:41], v241, v64                       // 00000001377C: D0CB0028 000281F1
	v_add_u32_e32 v241, 64, v241                               // 000000013784: 69E3E2C0
	s_nop 0                                                    // 000000013788: BF800000
	v_cndmask_b32_e64 v141, v66, v141, s[40:41]                // 00000001378C: D100008D 00A31B42
	v_cmp_le_u32_e64 s[40:41], v242, v64                       // 000000013794: D0CB0028 000281F2
	v_add_u32_e32 v242, 64, v242                               // 00000001379C: 69E5E4C0
	s_nop 0                                                    // 0000000137A0: BF800000
	v_cndmask_b32_e64 v142, v66, v142, s[40:41]                // 0000000137A4: D100008E 00A31D42
	v_cmp_le_u32_e64 s[40:41], v243, v64                       // 0000000137AC: D0CB0028 000281F3
	v_add_u32_e32 v243, 64, v243                               // 0000000137B4: 69E7E6C0
	s_nop 0                                                    // 0000000137B8: BF800000
	v_cndmask_b32_e64 v143, v66, v143, s[40:41]                // 0000000137BC: D100008F 00A31F42

00000000000137c4 <label_4571>:
	v_mov_b32_e32 v48, v128                                    // 0000000137C4: 7E600380
	v_max3_f32 v48, v128, v129, v48                            // 0000000137C8: D1D30030 04C30380
	v_max3_f32 v48, v130, v131, v48                            // 0000000137D0: D1D30030 04C30782
	v_max3_f32 v48, v132, v133, v48                            // 0000000137D8: D1D30030 04C30B84
	v_max3_f32 v48, v134, v135, v48                            // 0000000137E0: D1D30030 04C30F86
	v_max3_f32 v48, v136, v137, v48                            // 0000000137E8: D1D30030 04C31388
	v_max3_f32 v48, v138, v139, v48                            // 0000000137F0: D1D30030 04C3178A
	v_max3_f32 v48, v140, v141, v48                            // 0000000137F8: D1D30030 04C31B8C
	v_max3_f32 v48, v142, v143, v48                            // 000000013800: D1D30030 04C31F8E
	ds_write_b32 v8, v48 offset:16896                          // 000000013808: D81A4200 00003008
	v_mul_f32_e32 v216, v50, v216                              // 000000013810: 0BB1B132
	v_mul_f32_e32 v217, v50, v217                              // 000000013814: 0BB3B332
	v_mul_f32_e32 v218, v50, v218                              // 000000013818: 0BB5B532
	v_mul_f32_e32 v219, v50, v219                              // 00000001381C: 0BB7B732
	v_mul_f32_e32 v220, v50, v220                              // 000000013820: 0BB9B932
	v_mul_f32_e32 v221, v50, v221                              // 000000013824: 0BBBBB32
	v_mul_f32_e32 v222, v50, v222                              // 000000013828: 0BBDBD32
	v_mul_f32_e32 v223, v50, v223                              // 00000001382C: 0BBFBF32
	s_waitcnt lgkmcnt(0)                                       // 000000013830: BF8CC07F
	s_barrier                                                  // 000000013834: BF8A0000
	ds_read_b32 v64, v7 offset:16896                           // 000000013838: D86C4200 40000007
	ds_read_b32 v65, v7 offset:16960                           // 000000013840: D86C4240 41000007
	ds_read_b32 v66, v7 offset:17024                           // 000000013848: D86C4280 42000007
	ds_read_b32 v67, v7 offset:17088                           // 000000013850: D86C42C0 43000007
	ds_read_b32 v68, v7 offset:17152                           // 000000013858: D86C4300 44000007
	ds_read_b32 v69, v7 offset:17216                           // 000000013860: D86C4340 45000007
	ds_read_b32 v70, v7 offset:17280                           // 000000013868: D86C4380 46000007
	ds_read_b32 v71, v7 offset:17344                           // 000000013870: D86C43C0 47000007
	ds_read_b32 v72, v7 offset:17408                           // 000000013878: D86C4400 48000007
	ds_read_b32 v73, v7 offset:17472                           // 000000013880: D86C4440 49000007
	ds_read_b32 v74, v7 offset:17536                           // 000000013888: D86C4480 4A000007
	ds_read_b32 v75, v7 offset:17600                           // 000000013890: D86C44C0 4B000007
	ds_read_b32 v76, v7 offset:17664                           // 000000013898: D86C4500 4C000007
	ds_read_b32 v77, v7 offset:17728                           // 0000000138A0: D86C4540 4D000007
	ds_read_b32 v78, v7 offset:17792                           // 0000000138A8: D86C4580 4E000007
	ds_read_b32 v79, v7 offset:17856                           // 0000000138B0: D86C45C0 4F000007
	v_mul_f32_e32 v184, v45, v184                              // 0000000138B8: 0B71712D
	v_mul_f32_e32 v185, v45, v185                              // 0000000138BC: 0B73732D
	v_mul_f32_e32 v186, v45, v186                              // 0000000138C0: 0B75752D
	v_mul_f32_e32 v187, v45, v187                              // 0000000138C4: 0B77772D
	v_mul_f32_e32 v188, v45, v188                              // 0000000138C8: 0B79792D
	v_mul_f32_e32 v189, v45, v189                              // 0000000138CC: 0B7B7B2D
	v_mul_f32_e32 v190, v45, v190                              // 0000000138D0: 0B7D7D2D
	v_mul_f32_e32 v191, v45, v191                              // 0000000138D4: 0B7F7F2D
	s_waitcnt lgkmcnt(0)                                       // 0000000138D8: BF8CC07F
	v_max3_f32 v48, v64, v65, v48                              // 0000000138DC: D1D30030 04C28340
	v_max3_f32 v48, v66, v67, v48                              // 0000000138E4: D1D30030 04C28742
	v_max3_f32 v48, v68, v69, v48                              // 0000000138EC: D1D30030 04C28B44
	v_max3_f32 v48, v70, v71, v48                              // 0000000138F4: D1D30030 04C28F46
	v_max3_f32 v48, v72, v73, v48                              // 0000000138FC: D1D30030 04C29348
	v_max3_f32 v48, v74, v75, v48                              // 000000013904: D1D30030 04C2974A
	v_max3_f32 v48, v76, v77, v48                              // 00000001390C: D1D30030 04C29B4C
	v_max3_f32 v48, v78, v79, v48                              // 000000013914: D1D30030 04C29F4E
	v_mov_b32_e32 v64, 0xff800000                              // 00000001391C: 7E8002FF FF800000
	v_cmp_eq_u32_e64 s[40:41], v64, v12                        // 000000013924: D0CA0028 00021940
	s_nop 1                                                    // 00000001392C: BF800001
	v_max_f32_e32 v15, v48, v12                                // 000000013930: 161E1930
	v_mul_f32_e32 v53, s64, v15                                // 000000013934: 0A6A1E40
	v_fma_f32 v128, v128, s64, -v53                            // 000000013938: D1CB0080 84D48180
	v_fma_f32 v129, v129, s64, -v53                            // 000000013940: D1CB0081 84D48181
	v_fma_f32 v130, v130, s64, -v53                            // 000000013948: D1CB0082 84D48182
	v_fma_f32 v131, v131, s64, -v53                            // 000000013950: D1CB0083 84D48183
	v_fma_f32 v132, v132, s64, -v53                            // 000000013958: D1CB0084 84D48184
	v_fma_f32 v133, v133, s64, -v53                            // 000000013960: D1CB0085 84D48185
	v_fma_f32 v134, v134, s64, -v53                            // 000000013968: D1CB0086 84D48186
	v_fma_f32 v135, v135, s64, -v53                            // 000000013970: D1CB0087 84D48187
	v_fma_f32 v136, v136, s64, -v53                            // 000000013978: D1CB0088 84D48188
	v_fma_f32 v137, v137, s64, -v53                            // 000000013980: D1CB0089 84D48189
	v_fma_f32 v138, v138, s64, -v53                            // 000000013988: D1CB008A 84D4818A
	v_fma_f32 v139, v139, s64, -v53                            // 000000013990: D1CB008B 84D4818B
	v_fma_f32 v140, v140, s64, -v53                            // 000000013998: D1CB008C 84D4818C
	v_fma_f32 v141, v141, s64, -v53                            // 0000000139A0: D1CB008D 84D4818D
	v_fma_f32 v142, v142, s64, -v53                            // 0000000139A8: D1CB008E 84D4818E
	v_fma_f32 v143, v143, s64, -v53                            // 0000000139B0: D1CB008F 84D4818F
	v_exp_f32_e32 v128, v128                                   // 0000000139B8: 7F004180
	v_exp_f32_e32 v129, v129                                   // 0000000139BC: 7F024181
	v_exp_f32_e32 v130, v130                                   // 0000000139C0: 7F044182
	v_exp_f32_e32 v131, v131                                   // 0000000139C4: 7F064183
	v_exp_f32_e32 v132, v132                                   // 0000000139C8: 7F084184
	v_exp_f32_e32 v133, v133                                   // 0000000139CC: 7F0A4185
	v_exp_f32_e32 v134, v134                                   // 0000000139D0: 7F0C4186
	v_exp_f32_e32 v135, v135                                   // 0000000139D4: 7F0E4187
	v_exp_f32_e32 v136, v136                                   // 0000000139D8: 7F104188
	v_exp_f32_e32 v137, v137                                   // 0000000139DC: 7F124189
	v_exp_f32_e32 v138, v138                                   // 0000000139E0: 7F14418A
	v_exp_f32_e32 v139, v139                                   // 0000000139E4: 7F16418B
	v_exp_f32_e32 v140, v140                                   // 0000000139E8: 7F18418C
	v_exp_f32_e32 v141, v141                                   // 0000000139EC: 7F1A418D
	v_exp_f32_e32 v142, v142                                   // 0000000139F0: 7F1C418E
	v_exp_f32_e32 v143, v143                                   // 0000000139F4: 7F1E418F
	v_mul_f32_dpp v240, v252, v128 quad_perm:[0,0,0,0] row_mask:0xf bank_mask:0xf// 0000000139F8: 0BE100FA FF0000FC
	v_mul_f32_dpp v241, v252, v129 quad_perm:[1,1,1,1] row_mask:0xf bank_mask:0xf// 000000013A00: 0BE302FA FF0055FC
	v_mul_f32_dpp v242, v252, v130 quad_perm:[2,2,2,2] row_mask:0xf bank_mask:0xf// 000000013A08: 0BE504FA FF00AAFC
	v_mul_f32_dpp v243, v252, v131 quad_perm:[3,3,3,3] row_mask:0xf bank_mask:0xf// 000000013A10: 0BE706FA FF00FFFC
	v_mul_f32_dpp v244, v253, v132 quad_perm:[0,0,0,0] row_mask:0xf bank_mask:0xf// 000000013A18: 0BE908FA FF0000FD
	v_mul_f32_dpp v245, v253, v133 quad_perm:[1,1,1,1] row_mask:0xf bank_mask:0xf// 000000013A20: 0BEB0AFA FF0055FD
	v_mul_f32_dpp v246, v253, v134 quad_perm:[2,2,2,2] row_mask:0xf bank_mask:0xf// 000000013A28: 0BED0CFA FF00AAFD
	v_mul_f32_dpp v247, v253, v135 quad_perm:[3,3,3,3] row_mask:0xf bank_mask:0xf// 000000013A30: 0BEF0EFA FF00FFFD
	v_mul_f32_dpp v248, v254, v136 quad_perm:[0,0,0,0] row_mask:0xf bank_mask:0xf// 000000013A38: 0BF110FA FF0000FE
	v_mul_f32_dpp v249, v254, v137 quad_perm:[1,1,1,1] row_mask:0xf bank_mask:0xf// 000000013A40: 0BF312FA FF0055FE
	v_mul_f32_dpp v250, v254, v138 quad_perm:[2,2,2,2] row_mask:0xf bank_mask:0xf// 000000013A48: 0BF514FA FF00AAFE
	v_mul_f32_dpp v251, v254, v139 quad_perm:[3,3,3,3] row_mask:0xf bank_mask:0xf// 000000013A50: 0BF716FA FF00FFFE
	v_mul_f32_dpp v252, v255, v140 quad_perm:[0,0,0,0] row_mask:0xf bank_mask:0xf// 000000013A58: 0BF918FA FF0000FF
	v_mul_f32_dpp v253, v255, v141 quad_perm:[1,1,1,1] row_mask:0xf bank_mask:0xf// 000000013A60: 0BFB1AFA FF0055FF
	v_mul_f32_dpp v254, v255, v142 quad_perm:[2,2,2,2] row_mask:0xf bank_mask:0xf// 000000013A68: 0BFD1CFA FF00AAFF
	v_mul_f32_dpp v255, v255, v143 quad_perm:[3,3,3,3] row_mask:0xf bank_mask:0xf// 000000013A70: 0BFF1EFA FF00FFFF
	v_mov_b32_e32 v48, 0x358637bd                              // 000000013A78: 7E6002FF 358637BD
	v_max3_f32 v48, |v240|, |v241|, v48                        // 000000013A80: D1D30330 04C3E3F0
	v_max3_f32 v48, |v242|, |v243|, v48                        // 000000013A88: D1D30330 04C3E7F2
	v_max3_f32 v48, |v244|, |v245|, v48                        // 000000013A90: D1D30330 04C3EBF4
	v_max3_f32 v48, |v246|, |v247|, v48                        // 000000013A98: D1D30330 04C3EFF6
	v_max3_f32 v48, |v248|, |v249|, v48                        // 000000013AA0: D1D30330 04C3F3F8
	v_max3_f32 v48, |v250|, |v251|, v48                        // 000000013AA8: D1D30330 04C3F7FA
	v_max3_f32 v48, |v252|, |v253|, v48                        // 000000013AB0: D1D30330 04C3FBFC
	v_max3_f32 v48, |v254|, |v255|, v48                        // 000000013AB8: D1D30330 04C3FFFE
	ds_write_b32 v8, v48 offset:20992                          // 000000013AC0: D81A5200 00003008
	v_sub_f32_e32 v50, v12, v15                                // 000000013AC8: 04641F0C
	v_cndmask_b32_e64 v50, v50, 0, s[40:41]                    // 000000013ACC: D1000032 00A10132
	v_mov_b32_e32 v12, v15                                     // 000000013AD4: 7E18030F
	v_mul_f32_e32 v50, s64, v50                                // 000000013AD8: 0A646440
	v_exp_f32_e32 v50, v50                                     // 000000013ADC: 7E644132
	s_waitcnt lgkmcnt(0)                                       // 000000013AE0: BF8CC07F
	s_barrier                                                  // 000000013AE4: BF8A0000
	ds_read_b32 v64, v7 offset:20992                           // 000000013AE8: D86C5200 40000007
	ds_read_b32 v65, v7 offset:21056                           // 000000013AF0: D86C5240 41000007
	ds_read_b32 v66, v7 offset:21120                           // 000000013AF8: D86C5280 42000007
	ds_read_b32 v67, v7 offset:21184                           // 000000013B00: D86C52C0 43000007
	ds_read_b32 v68, v7 offset:21248                           // 000000013B08: D86C5300 44000007
	ds_read_b32 v69, v7 offset:21312                           // 000000013B10: D86C5340 45000007
	ds_read_b32 v70, v7 offset:21376                           // 000000013B18: D86C5380 46000007
	ds_read_b32 v71, v7 offset:21440                           // 000000013B20: D86C53C0 47000007
	ds_read_b32 v72, v7 offset:21504                           // 000000013B28: D86C5400 48000007
	ds_read_b32 v73, v7 offset:21568                           // 000000013B30: D86C5440 49000007
	ds_read_b32 v74, v7 offset:21632                           // 000000013B38: D86C5480 4A000007
	ds_read_b32 v75, v7 offset:21696                           // 000000013B40: D86C54C0 4B000007
	ds_read_b32 v76, v7 offset:21760                           // 000000013B48: D86C5500 4C000007
	ds_read_b32 v77, v7 offset:21824                           // 000000013B50: D86C5540 4D000007
	ds_read_b32 v78, v7 offset:21888                           // 000000013B58: D86C5580 4E000007
	ds_read_b32 v79, v7 offset:21952                           // 000000013B60: D86C55C0 4F000007
	v_mul_f32_e32 v39, v50, v39                                // 000000013B68: 0A4E4F32
	v_mov_b32_e32 v15, v128                                    // 000000013B6C: 7E1E0380
	v_add_f32_e32 v15, v129, v15                               // 000000013B70: 021E1F81
	v_add_f32_e32 v15, v130, v15                               // 000000013B74: 021E1F82
	v_add_f32_e32 v15, v131, v15                               // 000000013B78: 021E1F83
	v_add_f32_e32 v15, v132, v15                               // 000000013B7C: 021E1F84
	v_add_f32_e32 v15, v133, v15                               // 000000013B80: 021E1F85
	v_add_f32_e32 v15, v134, v15                               // 000000013B84: 021E1F86
	v_add_f32_e32 v15, v135, v15                               // 000000013B88: 021E1F87
	v_add_f32_e32 v15, v136, v15                               // 000000013B8C: 021E1F88
	v_add_f32_e32 v15, v137, v15                               // 000000013B90: 021E1F89
	v_add_f32_e32 v15, v138, v15                               // 000000013B94: 021E1F8A
	v_add_f32_e32 v15, v139, v15                               // 000000013B98: 021E1F8B
	v_add_f32_e32 v15, v140, v15                               // 000000013B9C: 021E1F8C
	v_add_f32_e32 v15, v141, v15                               // 000000013BA0: 021E1F8D
	v_add_f32_e32 v15, v142, v15                               // 000000013BA4: 021E1F8E
	v_add_f32_e32 v15, v143, v15                               // 000000013BA8: 021E1F8F
	v_add_f32_e32 v39, v15, v39                                // 000000013BAC: 024E4F0F
	s_waitcnt lgkmcnt(0)                                       // 000000013BB0: BF8CC07F
	v_max3_f32 v48, |v64|, |v65|, v48                          // 000000013BB4: D1D30330 04C28340
	v_max3_f32 v48, |v66|, |v67|, v48                          // 000000013BBC: D1D30330 04C28742
	v_max3_f32 v48, |v68|, |v69|, v48                          // 000000013BC4: D1D30330 04C28B44
	v_max3_f32 v48, |v70|, |v71|, v48                          // 000000013BCC: D1D30330 04C28F46
	v_max3_f32 v48, |v72|, |v73|, v48                          // 000000013BD4: D1D30330 04C29348
	v_max3_f32 v48, |v74|, |v75|, v48                          // 000000013BDC: D1D30330 04C2974A
	v_max3_f32 v48, |v76|, |v77|, v48                          // 000000013BE4: D1D30330 04C29B4C
	v_max3_f32 v48, |v78|, |v79|, v48                          // 000000013BEC: D1D30330 04C29F4E
	s_nop 2                                                    // 000000013BF4: BF800002
	v_rcp_f32_e32 v48, v48                                     // 000000013BF8: 7E604530
	s_nop 1                                                    // 000000013BFC: BF800001
	v_mul_f32_e32 v48, 0x43e00000, v48                         // 000000013C00: 0A6060FF 43E00000
	v_mul_f32_e32 v128, v48, v240                              // 000000013C08: 0B01E130
	v_mul_f32_e32 v129, v48, v241                              // 000000013C0C: 0B03E330
	v_mul_f32_e32 v130, v48, v242                              // 000000013C10: 0B05E530
	v_mul_f32_e32 v131, v48, v243                              // 000000013C14: 0B07E730
	v_mul_f32_e32 v132, v48, v244                              // 000000013C18: 0B09E930
	v_mul_f32_e32 v133, v48, v245                              // 000000013C1C: 0B0BEB30
	v_mul_f32_e32 v134, v48, v246                              // 000000013C20: 0B0DED30
	v_mul_f32_e32 v135, v48, v247                              // 000000013C24: 0B0FEF30
	v_mul_f32_e32 v136, v48, v248                              // 000000013C28: 0B11F130
	v_mul_f32_e32 v137, v48, v249                              // 000000013C2C: 0B13F330
	v_mul_f32_e32 v138, v48, v250                              // 000000013C30: 0B15F530
	v_mul_f32_e32 v139, v48, v251                              // 000000013C34: 0B17F730
	v_mul_f32_e32 v140, v48, v252                              // 000000013C38: 0B19F930
	v_mul_f32_e32 v141, v48, v253                              // 000000013C3C: 0B1BFB30
	v_mul_f32_e32 v142, v48, v254                              // 000000013C40: 0B1DFD30
	v_mul_f32_e32 v143, v48, v255                              // 000000013C44: 0B1FFF30
	v_cvt_pk_fp8_f32 v128, v128, v129                          // 000000013C48: D2A20080 00030380
	v_cvt_pk_fp8_f32 v128, v130, v131 op_sel:[0,0,1]           // 000000013C50: D2A24080 00030782
	v_cvt_pk_fp8_f32 v129, v132, v133                          // 000000013C58: D2A20081 00030B84
	v_cvt_pk_fp8_f32 v129, v134, v135 op_sel:[0,0,1]           // 000000013C60: D2A24081 00030F86
	v_cvt_pk_fp8_f32 v130, v136, v137                          // 000000013C68: D2A20082 00031388
	v_cvt_pk_fp8_f32 v130, v138, v139 op_sel:[0,0,1]           // 000000013C70: D2A24082 0003178A
	v_cvt_pk_fp8_f32 v131, v140, v141                          // 000000013C78: D2A20083 00031B8C
	v_cvt_pk_fp8_f32 v131, v142, v143 op_sel:[0,0,1]           // 000000013C80: D2A24083 00031F8E
	ds_write_b32 v10, v128 offset:29184                        // 000000013C88: D81A7200 0000800A
	ds_write_b32 v10, v129 offset:30208                        // 000000013C90: D81A7600 0000810A
	ds_write_b32 v10, v130 offset:31232                        // 000000013C98: D81A7A00 0000820A
	ds_write_b32 v10, v131 offset:32256                        // 000000013CA0: D81A7E00 0000830A
	v_add_f32_e32 v216, v216, v184                             // 000000013CA8: 03B171D8
	v_add_f32_e32 v217, v217, v185                             // 000000013CAC: 03B373D9
	v_add_f32_e32 v218, v218, v186                             // 000000013CB0: 03B575DA
	v_add_f32_e32 v219, v219, v187                             // 000000013CB4: 03B777DB
	v_add_f32_e32 v220, v220, v188                             // 000000013CB8: 03B979DC
	v_add_f32_e32 v221, v221, v189                             // 000000013CBC: 03BB7BDD
	v_add_f32_e32 v222, v222, v190                             // 000000013CC0: 03BD7DDE
	v_add_f32_e32 v223, v223, v191                             // 000000013CC4: 03BF7FDF
	v_rcp_f32_e32 v45, v48                                     // 000000013CC8: 7E5A4530
	s_waitcnt lgkmcnt(0)                                       // 000000013CCC: BF8CC07F
	s_barrier                                                  // 000000013CD0: BF8A0000
	ds_read_b64 v[128:129], v9 offset:29184                    // 000000013CD4: D8EC7200 80000009
	ds_read_b64 v[130:131], v9 offset:29312                    // 000000013CDC: D8EC7280 82000009
	ds_read_b64 v[132:133], v9 offset:30208                    // 000000013CE4: D8EC7600 84000009
	ds_read_b64 v[134:135], v9 offset:30336                    // 000000013CEC: D8EC7680 86000009
	ds_read_b64 v[136:137], v9 offset:31232                    // 000000013CF4: D8EC7A00 88000009
	ds_read_b64 v[138:139], v9 offset:31360                    // 000000013CFC: D8EC7A80 8A000009
	ds_read_b64 v[140:141], v9 offset:32256                    // 000000013D04: D8EC7E00 8C000009
	ds_read_b64 v[142:143], v9 offset:32384                    // 000000013D0C: D8EC7E80 8E000009
	v_mov_b32_dpp v64, v43 row_shr:4 row_mask:0xf bank_mask:0xf// 000000013D14: 7E8002FA FF01142B
	v_mov_b32_dpp v65, v43 row_shl:4 row_mask:0xf bank_mask:0xf// 000000013D1C: 7E8202FA FF01042B
	v_cndmask_b32_e64 v248, v43, v64, s[44:45]                 // 000000013D24: D10000F8 00B2812B
	v_cndmask_b32_e64 v249, v65, v43, s[44:45]                 // 000000013D2C: D10000F9 00B25741
	v_mov_b32_dpp v64, v248 row_shr:8 row_mask:0xf bank_mask:0xf// 000000013D34: 7E8002FA FF0118F8
	v_mov_b32_dpp v65, v248 row_shl:8 row_mask:0xf bank_mask:0xf// 000000013D3C: 7E8202FA FF0108F8
	v_mov_b32_dpp v66, v249 row_shr:8 row_mask:0xf bank_mask:0xf// 000000013D44: 7E8402FA FF0118F9
	v_mov_b32_dpp v67, v249 row_shl:8 row_mask:0xf bank_mask:0xf// 000000013D4C: 7E8602FA FF0108F9
	v_mov_b32_e32 v68, v248                                    // 000000013D54: 7E8803F8
	v_mov_b32_e32 v69, v249                                    // 000000013D58: 7E8A03F9
	v_cndmask_b32_e64 v248, v68, v64, s[42:43]                 // 000000013D5C: D10000F8 00AA8144
	v_cndmask_b32_e64 v250, v68, v65, s[78:79]                 // 000000013D64: D10000FA 013A8344
	v_cndmask_b32_e64 v249, v69, v66, s[42:43]                 // 000000013D6C: D10000F9 00AA8545
	v_cndmask_b32_e64 v251, v69, v67, s[78:79]                 // 000000013D74: D10000FB 013A8745
	v_mov_b32_dpp v64, v58 row_shr:4 row_mask:0xf bank_mask:0xf// 000000013D7C: 7E8002FA FF01143A
	v_mov_b32_dpp v65, v58 row_shl:4 row_mask:0xf bank_mask:0xf// 000000013D84: 7E8202FA FF01043A
	v_cndmask_b32_e64 v252, v58, v64, s[44:45]                 // 000000013D8C: D10000FC 00B2813A
	v_cndmask_b32_e64 v253, v65, v58, s[44:45]                 // 000000013D94: D10000FD 00B27541
	v_mov_b32_dpp v64, v252 row_shr:8 row_mask:0xf bank_mask:0xf// 000000013D9C: 7E8002FA FF0118FC
	v_mov_b32_dpp v65, v252 row_shl:8 row_mask:0xf bank_mask:0xf// 000000013DA4: 7E8202FA FF0108FC
	v_mov_b32_dpp v66, v253 row_shr:8 row_mask:0xf bank_mask:0xf// 000000013DAC: 7E8402FA FF0118FD
	v_mov_b32_dpp v67, v253 row_shl:8 row_mask:0xf bank_mask:0xf// 000000013DB4: 7E8602FA FF0108FD
	v_mov_b32_e32 v68, v252                                    // 000000013DBC: 7E8803FC
	v_mov_b32_e32 v69, v253                                    // 000000013DC0: 7E8A03FD
	v_cndmask_b32_e64 v252, v68, v64, s[42:43]                 // 000000013DC4: D10000FC 00AA8144
	v_cndmask_b32_e64 v254, v68, v65, s[78:79]                 // 000000013DCC: D10000FE 013A8344
	v_cndmask_b32_e64 v253, v69, v66, s[42:43]                 // 000000013DD4: D10000FD 00AA8545
	v_cndmask_b32_e64 v255, v69, v67, s[78:79]                 // 000000013DDC: D10000FF 013A8745
	v_mul_f32_e32 v144, v20, v144                              // 000000013DE4: 0B212114
	v_mul_f32_e32 v145, v20, v145                              // 000000013DE8: 0B232314
	v_mul_f32_e32 v146, v20, v146                              // 000000013DEC: 0B252514
	v_mul_f32_e32 v147, v20, v147                              // 000000013DF0: 0B272714
	v_mul_f32_e32 v148, v20, v148                              // 000000013DF4: 0B292914
	v_mul_f32_e32 v149, v20, v149                              // 000000013DF8: 0B2B2B14
	v_mul_f32_e32 v150, v20, v150                              // 000000013DFC: 0B2D2D14
	v_mul_f32_e32 v151, v20, v151                              // 000000013E00: 0B2F2F14
	v_mul_f32_e32 v152, v20, v152                              // 000000013E04: 0B313114
	v_mul_f32_e32 v153, v20, v153                              // 000000013E08: 0B333314
	v_mul_f32_e32 v154, v20, v154                              // 000000013E0C: 0B353514
	v_mul_f32_e32 v155, v20, v155                              // 000000013E10: 0B373714
	v_mul_f32_e32 v156, v20, v156                              // 000000013E14: 0B393914
	v_mul_f32_e32 v157, v20, v157                              // 000000013E18: 0B3B3B14
	v_mul_f32_e32 v158, v20, v158                              // 000000013E1C: 0B3D3D14
	v_mul_f32_e32 v159, v20, v159                              // 000000013E20: 0B3F3F14
	v_mul_f32_dpp v144, v248, v144 quad_perm:[0,0,0,0] row_mask:0xf bank_mask:0xf// 000000013E24: 0B2120FA FF0000F8
	v_mul_f32_dpp v145, v248, v145 quad_perm:[1,1,1,1] row_mask:0xf bank_mask:0xf// 000000013E2C: 0B2322FA FF0055F8
	v_mul_f32_dpp v146, v248, v146 quad_perm:[2,2,2,2] row_mask:0xf bank_mask:0xf// 000000013E34: 0B2524FA FF00AAF8
	v_mul_f32_dpp v147, v248, v147 quad_perm:[3,3,3,3] row_mask:0xf bank_mask:0xf// 000000013E3C: 0B2726FA FF00FFF8
	v_mul_f32_dpp v148, v249, v148 quad_perm:[0,0,0,0] row_mask:0xf bank_mask:0xf// 000000013E44: 0B2928FA FF0000F9
	v_mul_f32_dpp v149, v249, v149 quad_perm:[1,1,1,1] row_mask:0xf bank_mask:0xf// 000000013E4C: 0B2B2AFA FF0055F9
	v_mul_f32_dpp v150, v249, v150 quad_perm:[2,2,2,2] row_mask:0xf bank_mask:0xf// 000000013E54: 0B2D2CFA FF00AAF9
	v_mul_f32_dpp v151, v249, v151 quad_perm:[3,3,3,3] row_mask:0xf bank_mask:0xf// 000000013E5C: 0B2F2EFA FF00FFF9
	v_mul_f32_dpp v152, v250, v152 quad_perm:[0,0,0,0] row_mask:0xf bank_mask:0xf// 000000013E64: 0B3130FA FF0000FA
	v_mul_f32_dpp v153, v250, v153 quad_perm:[1,1,1,1] row_mask:0xf bank_mask:0xf// 000000013E6C: 0B3332FA FF0055FA
	v_mul_f32_dpp v154, v250, v154 quad_perm:[2,2,2,2] row_mask:0xf bank_mask:0xf// 000000013E74: 0B3534FA FF00AAFA
	v_mul_f32_dpp v155, v250, v155 quad_perm:[3,3,3,3] row_mask:0xf bank_mask:0xf// 000000013E7C: 0B3736FA FF00FFFA
	v_mul_f32_dpp v156, v251, v156 quad_perm:[0,0,0,0] row_mask:0xf bank_mask:0xf// 000000013E84: 0B3938FA FF0000FB
	v_mul_f32_dpp v157, v251, v157 quad_perm:[1,1,1,1] row_mask:0xf bank_mask:0xf// 000000013E8C: 0B3B3AFA FF0055FB
	v_mul_f32_dpp v158, v251, v158 quad_perm:[2,2,2,2] row_mask:0xf bank_mask:0xf// 000000013E94: 0B3D3CFA FF00AAFB
	v_mul_f32_dpp v159, v251, v159 quad_perm:[3,3,3,3] row_mask:0xf bank_mask:0xf// 000000013E9C: 0B3F3EFA FF00FFFB
	s_cmp_le_i32 s90, s89                                      // 000000013EA4: BF05595A
	s_cbranch_scc1 label_479C                                  // 000000013EA8: BF850071
	v_mov_b32_e32 v66, 0xff800000                              // 000000013EAC: 7E8402FF FF800000
	s_mov_b32 s60, s90                                         // 000000013EB4: BEBC005A
	s_add_u32 s61, s89, 0xff                                   // 000000013EB8: 803DFF59 000000FF
	v_mov_b32_e32 v64, s61                                     // 000000013EC0: 7E80023D
	v_lshrrev_b32_e32 v240, 4, v0                              // 000000013EC4: 21E00084
	v_mul_i32_i24_e32 v240, 4, v240                            // 000000013EC8: 0DE1E084
	v_add_u32_e32 v240, s60, v240                              // 000000013ECC: 69E1E03C
	s_mov_b32 s61, 2                                           // 000000013ED0: BEBD0082
	s_mul_i32 s60, 16, s7                                      // 000000013ED4: 923C0790
	v_sub_u32_e64 v240, v240, s61                              // 000000013ED8: D13500F0 00007BF0
	v_add_u32_e32 v240, s60, v240                              // 000000013EE0: 69E1E03C
	v_add_u32_e32 v241, 1, v240                                // 000000013EE4: 69E3E081
	v_add_u32_e32 v242, 2, v240                                // 000000013EE8: 69E5E082
	v_add_u32_e32 v243, 3, v240                                // 000000013EEC: 69E7E083
	v_cmp_le_u32_e64 s[40:41], v240, v64                       // 000000013EF0: D0CB0028 000281F0
	v_add_u32_e32 v240, 64, v240                               // 000000013EF8: 69E1E0C0
	s_nop 0                                                    // 000000013EFC: BF800000
	v_cndmask_b32_e64 v144, v66, v144, s[40:41]                // 000000013F00: D1000090 00A32142
	v_cmp_le_u32_e64 s[40:41], v241, v64                       // 000000013F08: D0CB0028 000281F1
	v_add_u32_e32 v241, 64, v241                               // 000000013F10: 69E3E2C0
	s_nop 0                                                    // 000000013F14: BF800000
	v_cndmask_b32_e64 v145, v66, v145, s[40:41]                // 000000013F18: D1000091 00A32342
	v_cmp_le_u32_e64 s[40:41], v242, v64                       // 000000013F20: D0CB0028 000281F2
	v_add_u32_e32 v242, 64, v242                               // 000000013F28: 69E5E4C0
	s_nop 0                                                    // 000000013F2C: BF800000
	v_cndmask_b32_e64 v146, v66, v146, s[40:41]                // 000000013F30: D1000092 00A32542
	v_cmp_le_u32_e64 s[40:41], v243, v64                       // 000000013F38: D0CB0028 000281F3
	v_add_u32_e32 v243, 64, v243                               // 000000013F40: 69E7E6C0
	s_nop 0                                                    // 000000013F44: BF800000
	v_cndmask_b32_e64 v147, v66, v147, s[40:41]                // 000000013F48: D1000093 00A32742
	v_cmp_le_u32_e64 s[40:41], v240, v64                       // 000000013F50: D0CB0028 000281F0
	v_add_u32_e32 v240, 64, v240                               // 000000013F58: 69E1E0C0
	s_nop 0                                                    // 000000013F5C: BF800000
	v_cndmask_b32_e64 v148, v66, v148, s[40:41]                // 000000013F60: D1000094 00A32942
	v_cmp_le_u32_e64 s[40:41], v241, v64                       // 000000013F68: D0CB0028 000281F1
	v_add_u32_e32 v241, 64, v241                               // 000000013F70: 69E3E2C0
	s_nop 0                                                    // 000000013F74: BF800000
	v_cndmask_b32_e64 v149, v66, v149, s[40:41]                // 000000013F78: D1000095 00A32B42
	v_cmp_le_u32_e64 s[40:41], v242, v64                       // 000000013F80: D0CB0028 000281F2
	v_add_u32_e32 v242, 64, v242                               // 000000013F88: 69E5E4C0
	s_nop 0                                                    // 000000013F8C: BF800000
	v_cndmask_b32_e64 v150, v66, v150, s[40:41]                // 000000013F90: D1000096 00A32D42
	v_cmp_le_u32_e64 s[40:41], v243, v64                       // 000000013F98: D0CB0028 000281F3
	v_add_u32_e32 v243, 64, v243                               // 000000013FA0: 69E7E6C0
	s_nop 0                                                    // 000000013FA4: BF800000
	v_cndmask_b32_e64 v151, v66, v151, s[40:41]                // 000000013FA8: D1000097 00A32F42
	v_cmp_le_u32_e64 s[40:41], v240, v64                       // 000000013FB0: D0CB0028 000281F0
	v_add_u32_e32 v240, 64, v240                               // 000000013FB8: 69E1E0C0
	s_nop 0                                                    // 000000013FBC: BF800000
	v_cndmask_b32_e64 v152, v66, v152, s[40:41]                // 000000013FC0: D1000098 00A33142
	v_cmp_le_u32_e64 s[40:41], v241, v64                       // 000000013FC8: D0CB0028 000281F1
	v_add_u32_e32 v241, 64, v241                               // 000000013FD0: 69E3E2C0
	s_nop 0                                                    // 000000013FD4: BF800000
	v_cndmask_b32_e64 v153, v66, v153, s[40:41]                // 000000013FD8: D1000099 00A33342
	v_cmp_le_u32_e64 s[40:41], v242, v64                       // 000000013FE0: D0CB0028 000281F2
	v_add_u32_e32 v242, 64, v242                               // 000000013FE8: 69E5E4C0
	s_nop 0                                                    // 000000013FEC: BF800000
	v_cndmask_b32_e64 v154, v66, v154, s[40:41]                // 000000013FF0: D100009A 00A33542
	v_cmp_le_u32_e64 s[40:41], v243, v64                       // 000000013FF8: D0CB0028 000281F3
	v_add_u32_e32 v243, 64, v243                               // 000000014000: 69E7E6C0
	s_nop 0                                                    // 000000014004: BF800000
	v_cndmask_b32_e64 v155, v66, v155, s[40:41]                // 000000014008: D100009B 00A33742
	v_cmp_le_u32_e64 s[40:41], v240, v64                       // 000000014010: D0CB0028 000281F0
	v_add_u32_e32 v240, 64, v240                               // 000000014018: 69E1E0C0
	s_nop 0                                                    // 00000001401C: BF800000
	v_cndmask_b32_e64 v156, v66, v156, s[40:41]                // 000000014020: D100009C 00A33942
	v_cmp_le_u32_e64 s[40:41], v241, v64                       // 000000014028: D0CB0028 000281F1
	v_add_u32_e32 v241, 64, v241                               // 000000014030: 69E3E2C0
	s_nop 0                                                    // 000000014034: BF800000
	v_cndmask_b32_e64 v157, v66, v157, s[40:41]                // 000000014038: D100009D 00A33B42
	v_cmp_le_u32_e64 s[40:41], v242, v64                       // 000000014040: D0CB0028 000281F2
	v_add_u32_e32 v242, 64, v242                               // 000000014048: 69E5E4C0
	s_nop 0                                                    // 00000001404C: BF800000
	v_cndmask_b32_e64 v158, v66, v158, s[40:41]                // 000000014050: D100009E 00A33D42
	v_cmp_le_u32_e64 s[40:41], v243, v64                       // 000000014058: D0CB0028 000281F3
	v_add_u32_e32 v243, 64, v243                               // 000000014060: 69E7E6C0
	s_nop 0                                                    // 000000014064: BF800000
	v_cndmask_b32_e64 v159, v66, v159, s[40:41]                // 000000014068: D100009F 00A33F42

0000000000014070 <label_479C>:
	s_add_u32 s90, s91, s90                                    // 000000014070: 805A5A5B
	v_mov_b32_e32 v48, v144                                    // 000000014074: 7E600390
	v_max3_f32 v48, v144, v145, v48                            // 000000014078: D1D30030 04C32390
	v_max3_f32 v48, v146, v147, v48                            // 000000014080: D1D30030 04C32792
	v_max3_f32 v48, v148, v149, v48                            // 000000014088: D1D30030 04C32B94
	v_max3_f32 v48, v150, v151, v48                            // 000000014090: D1D30030 04C32F96
	v_max3_f32 v48, v152, v153, v48                            // 000000014098: D1D30030 04C33398
	v_max3_f32 v48, v154, v155, v48                            // 0000000140A0: D1D30030 04C3379A
	v_max3_f32 v48, v156, v157, v48                            // 0000000140A8: D1D30030 04C33B9C
	v_max3_f32 v48, v158, v159, v48                            // 0000000140B0: D1D30030 04C33F9E
	ds_write_b32 v8, v48 offset:16896                          // 0000000140B8: D81A4200 00003008
	v_mul_f32_e32 v224, v51, v224                              // 0000000140C0: 0BC1C133
	v_mul_f32_e32 v225, v51, v225                              // 0000000140C4: 0BC3C333
	v_mul_f32_e32 v226, v51, v226                              // 0000000140C8: 0BC5C533
	v_mul_f32_e32 v227, v51, v227                              // 0000000140CC: 0BC7C733
	v_mul_f32_e32 v228, v51, v228                              // 0000000140D0: 0BC9C933
	v_mul_f32_e32 v229, v51, v229                              // 0000000140D4: 0BCBCB33
	v_mul_f32_e32 v230, v51, v230                              // 0000000140D8: 0BCDCD33
	v_mul_f32_e32 v231, v51, v231                              // 0000000140DC: 0BCFCF33
	s_waitcnt lgkmcnt(0)                                       // 0000000140E0: BF8CC07F
	s_barrier                                                  // 0000000140E4: BF8A0000
	ds_read_b32 v64, v7 offset:16896                           // 0000000140E8: D86C4200 40000007
	ds_read_b32 v65, v7 offset:16960                           // 0000000140F0: D86C4240 41000007
	ds_read_b32 v66, v7 offset:17024                           // 0000000140F8: D86C4280 42000007
	ds_read_b32 v67, v7 offset:17088                           // 000000014100: D86C42C0 43000007
	ds_read_b32 v68, v7 offset:17152                           // 000000014108: D86C4300 44000007
	ds_read_b32 v69, v7 offset:17216                           // 000000014110: D86C4340 45000007
	ds_read_b32 v70, v7 offset:17280                           // 000000014118: D86C4380 46000007
	ds_read_b32 v71, v7 offset:17344                           // 000000014120: D86C43C0 47000007
	ds_read_b32 v72, v7 offset:17408                           // 000000014128: D86C4400 48000007
	ds_read_b32 v73, v7 offset:17472                           // 000000014130: D86C4440 49000007
	ds_read_b32 v74, v7 offset:17536                           // 000000014138: D86C4480 4A000007
	ds_read_b32 v75, v7 offset:17600                           // 000000014140: D86C44C0 4B000007
	ds_read_b32 v76, v7 offset:17664                           // 000000014148: D86C4500 4C000007
	ds_read_b32 v77, v7 offset:17728                           // 000000014150: D86C4540 4D000007
	ds_read_b32 v78, v7 offset:17792                           // 000000014158: D86C4580 4E000007
	ds_read_b32 v79, v7 offset:17856                           // 000000014160: D86C45C0 4F000007
	v_mul_f32_e32 v192, v46, v192                              // 000000014168: 0B81812E
	v_mul_f32_e32 v193, v46, v193                              // 00000001416C: 0B83832E
	v_mul_f32_e32 v194, v46, v194                              // 000000014170: 0B85852E
	v_mul_f32_e32 v195, v46, v195                              // 000000014174: 0B87872E
	v_mul_f32_e32 v196, v46, v196                              // 000000014178: 0B89892E
	v_mul_f32_e32 v197, v46, v197                              // 00000001417C: 0B8B8B2E
	v_mul_f32_e32 v198, v46, v198                              // 000000014180: 0B8D8D2E
	v_mul_f32_e32 v199, v46, v199                              // 000000014184: 0B8F8F2E
	s_waitcnt lgkmcnt(0)                                       // 000000014188: BF8CC07F
	v_max3_f32 v48, v64, v65, v48                              // 00000001418C: D1D30030 04C28340
	v_max3_f32 v48, v66, v67, v48                              // 000000014194: D1D30030 04C28742
	v_max3_f32 v48, v68, v69, v48                              // 00000001419C: D1D30030 04C28B44
	v_max3_f32 v48, v70, v71, v48                              // 0000000141A4: D1D30030 04C28F46
	v_max3_f32 v48, v72, v73, v48                              // 0000000141AC: D1D30030 04C29348
	v_max3_f32 v48, v74, v75, v48                              // 0000000141B4: D1D30030 04C2974A
	v_max3_f32 v48, v76, v77, v48                              // 0000000141BC: D1D30030 04C29B4C
	v_max3_f32 v48, v78, v79, v48                              // 0000000141C4: D1D30030 04C29F4E
	v_mov_b32_e32 v64, 0xff800000                              // 0000000141CC: 7E8002FF FF800000
	v_cmp_eq_u32_e64 s[40:41], v64, v13                        // 0000000141D4: D0CA0028 00021B40
	s_nop 1                                                    // 0000000141DC: BF800001
	v_max_f32_e32 v15, v48, v13                                // 0000000141E0: 161E1B30
	v_mul_f32_e32 v53, s64, v15                                // 0000000141E4: 0A6A1E40
	v_fma_f32 v144, v144, s64, -v53                            // 0000000141E8: D1CB0090 84D48190
	v_fma_f32 v145, v145, s64, -v53                            // 0000000141F0: D1CB0091 84D48191
	v_fma_f32 v146, v146, s64, -v53                            // 0000000141F8: D1CB0092 84D48192
	v_fma_f32 v147, v147, s64, -v53                            // 000000014200: D1CB0093 84D48193
	v_fma_f32 v148, v148, s64, -v53                            // 000000014208: D1CB0094 84D48194
	v_fma_f32 v149, v149, s64, -v53                            // 000000014210: D1CB0095 84D48195
	v_fma_f32 v150, v150, s64, -v53                            // 000000014218: D1CB0096 84D48196
	v_fma_f32 v151, v151, s64, -v53                            // 000000014220: D1CB0097 84D48197
	v_fma_f32 v152, v152, s64, -v53                            // 000000014228: D1CB0098 84D48198
	v_fma_f32 v153, v153, s64, -v53                            // 000000014230: D1CB0099 84D48199
	v_fma_f32 v154, v154, s64, -v53                            // 000000014238: D1CB009A 84D4819A
	v_fma_f32 v155, v155, s64, -v53                            // 000000014240: D1CB009B 84D4819B
	v_fma_f32 v156, v156, s64, -v53                            // 000000014248: D1CB009C 84D4819C
	v_fma_f32 v157, v157, s64, -v53                            // 000000014250: D1CB009D 84D4819D
	v_fma_f32 v158, v158, s64, -v53                            // 000000014258: D1CB009E 84D4819E
	v_fma_f32 v159, v159, s64, -v53                            // 000000014260: D1CB009F 84D4819F
	v_exp_f32_e32 v144, v144                                   // 000000014268: 7F204190
	v_exp_f32_e32 v145, v145                                   // 00000001426C: 7F224191
	v_exp_f32_e32 v146, v146                                   // 000000014270: 7F244192
	v_exp_f32_e32 v147, v147                                   // 000000014274: 7F264193
	v_exp_f32_e32 v148, v148                                   // 000000014278: 7F284194
	v_exp_f32_e32 v149, v149                                   // 00000001427C: 7F2A4195
	v_exp_f32_e32 v150, v150                                   // 000000014280: 7F2C4196
	v_exp_f32_e32 v151, v151                                   // 000000014284: 7F2E4197
	v_exp_f32_e32 v152, v152                                   // 000000014288: 7F304198
	v_exp_f32_e32 v153, v153                                   // 00000001428C: 7F324199
	v_exp_f32_e32 v154, v154                                   // 000000014290: 7F34419A
	v_exp_f32_e32 v155, v155                                   // 000000014294: 7F36419B
	v_exp_f32_e32 v156, v156                                   // 000000014298: 7F38419C
	v_exp_f32_e32 v157, v157                                   // 00000001429C: 7F3A419D
	v_exp_f32_e32 v158, v158                                   // 0000000142A0: 7F3C419E
	v_exp_f32_e32 v159, v159                                   // 0000000142A4: 7F3E419F
	v_mul_f32_dpp v240, v252, v144 quad_perm:[0,0,0,0] row_mask:0xf bank_mask:0xf// 0000000142A8: 0BE120FA FF0000FC
	v_mul_f32_dpp v241, v252, v145 quad_perm:[1,1,1,1] row_mask:0xf bank_mask:0xf// 0000000142B0: 0BE322FA FF0055FC
	v_mul_f32_dpp v242, v252, v146 quad_perm:[2,2,2,2] row_mask:0xf bank_mask:0xf// 0000000142B8: 0BE524FA FF00AAFC
	v_mul_f32_dpp v243, v252, v147 quad_perm:[3,3,3,3] row_mask:0xf bank_mask:0xf// 0000000142C0: 0BE726FA FF00FFFC
	v_mul_f32_dpp v244, v253, v148 quad_perm:[0,0,0,0] row_mask:0xf bank_mask:0xf// 0000000142C8: 0BE928FA FF0000FD
	v_mul_f32_dpp v245, v253, v149 quad_perm:[1,1,1,1] row_mask:0xf bank_mask:0xf// 0000000142D0: 0BEB2AFA FF0055FD
	v_mul_f32_dpp v246, v253, v150 quad_perm:[2,2,2,2] row_mask:0xf bank_mask:0xf// 0000000142D8: 0BED2CFA FF00AAFD
	v_mul_f32_dpp v247, v253, v151 quad_perm:[3,3,3,3] row_mask:0xf bank_mask:0xf// 0000000142E0: 0BEF2EFA FF00FFFD
	v_mul_f32_dpp v248, v254, v152 quad_perm:[0,0,0,0] row_mask:0xf bank_mask:0xf// 0000000142E8: 0BF130FA FF0000FE
	v_mul_f32_dpp v249, v254, v153 quad_perm:[1,1,1,1] row_mask:0xf bank_mask:0xf// 0000000142F0: 0BF332FA FF0055FE
	v_mul_f32_dpp v250, v254, v154 quad_perm:[2,2,2,2] row_mask:0xf bank_mask:0xf// 0000000142F8: 0BF534FA FF00AAFE
	v_mul_f32_dpp v251, v254, v155 quad_perm:[3,3,3,3] row_mask:0xf bank_mask:0xf// 000000014300: 0BF736FA FF00FFFE
	v_mul_f32_dpp v252, v255, v156 quad_perm:[0,0,0,0] row_mask:0xf bank_mask:0xf// 000000014308: 0BF938FA FF0000FF
	v_mul_f32_dpp v253, v255, v157 quad_perm:[1,1,1,1] row_mask:0xf bank_mask:0xf// 000000014310: 0BFB3AFA FF0055FF
	v_mul_f32_dpp v254, v255, v158 quad_perm:[2,2,2,2] row_mask:0xf bank_mask:0xf// 000000014318: 0BFD3CFA FF00AAFF
	v_mul_f32_dpp v255, v255, v159 quad_perm:[3,3,3,3] row_mask:0xf bank_mask:0xf// 000000014320: 0BFF3EFA FF00FFFF
	v_mov_b32_e32 v48, 0x358637bd                              // 000000014328: 7E6002FF 358637BD
	v_max3_f32 v48, |v240|, |v241|, v48                        // 000000014330: D1D30330 04C3E3F0
	v_max3_f32 v48, |v242|, |v243|, v48                        // 000000014338: D1D30330 04C3E7F2
	v_max3_f32 v48, |v244|, |v245|, v48                        // 000000014340: D1D30330 04C3EBF4
	v_max3_f32 v48, |v246|, |v247|, v48                        // 000000014348: D1D30330 04C3EFF6
	v_max3_f32 v48, |v248|, |v249|, v48                        // 000000014350: D1D30330 04C3F3F8
	v_max3_f32 v48, |v250|, |v251|, v48                        // 000000014358: D1D30330 04C3F7FA
	v_max3_f32 v48, |v252|, |v253|, v48                        // 000000014360: D1D30330 04C3FBFC
	v_max3_f32 v48, |v254|, |v255|, v48                        // 000000014368: D1D30330 04C3FFFE
	ds_write_b32 v8, v48 offset:20992                          // 000000014370: D81A5200 00003008
	v_sub_f32_e32 v51, v13, v15                                // 000000014378: 04661F0D
	v_cndmask_b32_e64 v51, v51, 0, s[40:41]                    // 00000001437C: D1000033 00A10133
	v_mov_b32_e32 v13, v15                                     // 000000014384: 7E1A030F
	v_mul_f32_e32 v51, s64, v51                                // 000000014388: 0A666640
	v_exp_f32_e32 v51, v51                                     // 00000001438C: 7E664133
	s_waitcnt lgkmcnt(0)                                       // 000000014390: BF8CC07F
	s_barrier                                                  // 000000014394: BF8A0000
	ds_read_b32 v64, v7 offset:20992                           // 000000014398: D86C5200 40000007
	ds_read_b32 v65, v7 offset:21056                           // 0000000143A0: D86C5240 41000007
	ds_read_b32 v66, v7 offset:21120                           // 0000000143A8: D86C5280 42000007
	ds_read_b32 v67, v7 offset:21184                           // 0000000143B0: D86C52C0 43000007
	ds_read_b32 v68, v7 offset:21248                           // 0000000143B8: D86C5300 44000007
	ds_read_b32 v69, v7 offset:21312                           // 0000000143C0: D86C5340 45000007
	ds_read_b32 v70, v7 offset:21376                           // 0000000143C8: D86C5380 46000007
	ds_read_b32 v71, v7 offset:21440                           // 0000000143D0: D86C53C0 47000007
	ds_read_b32 v72, v7 offset:21504                           // 0000000143D8: D86C5400 48000007
	ds_read_b32 v73, v7 offset:21568                           // 0000000143E0: D86C5440 49000007
	ds_read_b32 v74, v7 offset:21632                           // 0000000143E8: D86C5480 4A000007
	ds_read_b32 v75, v7 offset:21696                           // 0000000143F0: D86C54C0 4B000007
	ds_read_b32 v76, v7 offset:21760                           // 0000000143F8: D86C5500 4C000007
	ds_read_b32 v77, v7 offset:21824                           // 000000014400: D86C5540 4D000007
	ds_read_b32 v78, v7 offset:21888                           // 000000014408: D86C5580 4E000007
	ds_read_b32 v79, v7 offset:21952                           // 000000014410: D86C55C0 4F000007
	v_mul_f32_e32 v40, v51, v40                                // 000000014418: 0A505133
	v_mov_b32_e32 v15, v144                                    // 00000001441C: 7E1E0390
	v_add_f32_e32 v15, v145, v15                               // 000000014420: 021E1F91
	v_add_f32_e32 v15, v146, v15                               // 000000014424: 021E1F92
	v_add_f32_e32 v15, v147, v15                               // 000000014428: 021E1F93
	v_add_f32_e32 v15, v148, v15                               // 00000001442C: 021E1F94
	v_add_f32_e32 v15, v149, v15                               // 000000014430: 021E1F95
	v_add_f32_e32 v15, v150, v15                               // 000000014434: 021E1F96
	v_add_f32_e32 v15, v151, v15                               // 000000014438: 021E1F97
	v_add_f32_e32 v15, v152, v15                               // 00000001443C: 021E1F98
	v_add_f32_e32 v15, v153, v15                               // 000000014440: 021E1F99
	v_add_f32_e32 v15, v154, v15                               // 000000014444: 021E1F9A
	v_add_f32_e32 v15, v155, v15                               // 000000014448: 021E1F9B
	v_add_f32_e32 v15, v156, v15                               // 00000001444C: 021E1F9C
	v_add_f32_e32 v15, v157, v15                               // 000000014450: 021E1F9D
	v_add_f32_e32 v15, v158, v15                               // 000000014454: 021E1F9E
	v_add_f32_e32 v15, v159, v15                               // 000000014458: 021E1F9F
	v_add_f32_e32 v40, v15, v40                                // 00000001445C: 0250510F
	s_waitcnt lgkmcnt(0)                                       // 000000014460: BF8CC07F
	v_max3_f32 v48, |v64|, |v65|, v48                          // 000000014464: D1D30330 04C28340
	v_max3_f32 v48, |v66|, |v67|, v48                          // 00000001446C: D1D30330 04C28742
	v_max3_f32 v48, |v68|, |v69|, v48                          // 000000014474: D1D30330 04C28B44
	v_max3_f32 v48, |v70|, |v71|, v48                          // 00000001447C: D1D30330 04C28F46
	v_max3_f32 v48, |v72|, |v73|, v48                          // 000000014484: D1D30330 04C29348
	v_max3_f32 v48, |v74|, |v75|, v48                          // 00000001448C: D1D30330 04C2974A
	v_max3_f32 v48, |v76|, |v77|, v48                          // 000000014494: D1D30330 04C29B4C
	v_max3_f32 v48, |v78|, |v79|, v48                          // 00000001449C: D1D30330 04C29F4E
	s_nop 2                                                    // 0000000144A4: BF800002
	v_rcp_f32_e32 v48, v48                                     // 0000000144A8: 7E604530
	s_nop 1                                                    // 0000000144AC: BF800001
	v_mul_f32_e32 v48, 0x43e00000, v48                         // 0000000144B0: 0A6060FF 43E00000
	v_mul_f32_e32 v144, v48, v240                              // 0000000144B8: 0B21E130
	v_mul_f32_e32 v145, v48, v241                              // 0000000144BC: 0B23E330
	v_mul_f32_e32 v146, v48, v242                              // 0000000144C0: 0B25E530
	v_mul_f32_e32 v147, v48, v243                              // 0000000144C4: 0B27E730
	v_mul_f32_e32 v148, v48, v244                              // 0000000144C8: 0B29E930
	v_mul_f32_e32 v149, v48, v245                              // 0000000144CC: 0B2BEB30
	v_mul_f32_e32 v150, v48, v246                              // 0000000144D0: 0B2DED30
	v_mul_f32_e32 v151, v48, v247                              // 0000000144D4: 0B2FEF30
	v_mul_f32_e32 v152, v48, v248                              // 0000000144D8: 0B31F130
	v_mul_f32_e32 v153, v48, v249                              // 0000000144DC: 0B33F330
	v_mul_f32_e32 v154, v48, v250                              // 0000000144E0: 0B35F530
	v_mul_f32_e32 v155, v48, v251                              // 0000000144E4: 0B37F730
	v_mul_f32_e32 v156, v48, v252                              // 0000000144E8: 0B39F930
	v_mul_f32_e32 v157, v48, v253                              // 0000000144EC: 0B3BFB30
	v_mul_f32_e32 v158, v48, v254                              // 0000000144F0: 0B3DFD30
	v_mul_f32_e32 v159, v48, v255                              // 0000000144F4: 0B3FFF30
	v_cvt_pk_fp8_f32 v144, v144, v145                          // 0000000144F8: D2A20090 00032390
	v_cvt_pk_fp8_f32 v144, v146, v147 op_sel:[0,0,1]           // 000000014500: D2A24090 00032792
	v_cvt_pk_fp8_f32 v145, v148, v149                          // 000000014508: D2A20091 00032B94
	v_cvt_pk_fp8_f32 v145, v150, v151 op_sel:[0,0,1]           // 000000014510: D2A24091 00032F96
	v_cvt_pk_fp8_f32 v146, v152, v153                          // 000000014518: D2A20092 00033398
	v_cvt_pk_fp8_f32 v146, v154, v155 op_sel:[0,0,1]           // 000000014520: D2A24092 0003379A
	v_cvt_pk_fp8_f32 v147, v156, v157                          // 000000014528: D2A20093 00033B9C
	v_cvt_pk_fp8_f32 v147, v158, v159 op_sel:[0,0,1]           // 000000014530: D2A24093 00033F9E
	ds_write_b32 v10, v144 offset:33280                        // 000000014538: D81A8200 0000900A
	ds_write_b32 v10, v145 offset:34304                        // 000000014540: D81A8600 0000910A
	ds_write_b32 v10, v146 offset:35328                        // 000000014548: D81A8A00 0000920A
	ds_write_b32 v10, v147 offset:36352                        // 000000014550: D81A8E00 0000930A
	v_add_f32_e32 v224, v224, v192                             // 000000014558: 03C181E0
	v_add_f32_e32 v225, v225, v193                             // 00000001455C: 03C383E1
	v_add_f32_e32 v226, v226, v194                             // 000000014560: 03C585E2
	v_add_f32_e32 v227, v227, v195                             // 000000014564: 03C787E3
	v_add_f32_e32 v228, v228, v196                             // 000000014568: 03C989E4
	v_add_f32_e32 v229, v229, v197                             // 00000001456C: 03CB8BE5
	v_add_f32_e32 v230, v230, v198                             // 000000014570: 03CD8DE6
	v_add_f32_e32 v231, v231, v199                             // 000000014574: 03CF8FE7
	v_rcp_f32_e32 v46, v48                                     // 000000014578: 7E5C4530
	s_waitcnt lgkmcnt(0)                                       // 00000001457C: BF8CC07F
	s_barrier                                                  // 000000014580: BF8A0000
	ds_read_b64 v[144:145], v9 offset:33280                    // 000000014584: D8EC8200 90000009
	ds_read_b64 v[146:147], v9 offset:33408                    // 00000001458C: D8EC8280 92000009
	ds_read_b64 v[148:149], v9 offset:34304                    // 000000014594: D8EC8600 94000009
	ds_read_b64 v[150:151], v9 offset:34432                    // 00000001459C: D8EC8680 96000009
	ds_read_b64 v[152:153], v9 offset:35328                    // 0000000145A4: D8EC8A00 98000009
	ds_read_b64 v[154:155], v9 offset:35456                    // 0000000145AC: D8EC8A80 9A000009
	ds_read_b64 v[156:157], v9 offset:36352                    // 0000000145B4: D8EC8E00 9C000009
	ds_read_b64 v[158:159], v9 offset:36480                    // 0000000145BC: D8EC8E80 9E000009
	s_waitcnt vmcnt(15)                                        // 0000000145C4: BF8C0F7F
	v_mfma_f32_16x16x32_fp8_fp8 v[176:179], a[96:97], v[112:113], 0// 0000000145C8: D3F300B0 0A02E160
	v_mfma_f32_16x16x32_fp8_fp8 v[176:179], a[98:99], v[114:115], v[176:179]// 0000000145D0: D3F300B0 0EC2E562
	buffer_load_dwordx4 a[80:83], v30, s[20:23], 0 offen offset:1024// 0000000145D8: E05C1400 8085501E
	v_mfma_f32_16x16x32_fp8_fp8 v[176:179], a[100:101], v[116:117], v[176:179]// 0000000145E0: D3F300B0 0EC2E964
	v_mfma_f32_16x16x32_fp8_fp8 v[176:179], a[102:103], v[118:119], v[176:179]// 0000000145E8: D3F300B0 0EC2ED66
	v_mfma_f32_16x16x32_fp8_fp8 v[176:179], a[104:105], v[120:121], v[176:179]// 0000000145F0: D3F300B0 0EC2F168
	v_mfma_f32_16x16x32_fp8_fp8 v[176:179], a[106:107], v[122:123], v[176:179]// 0000000145F8: D3F300B0 0EC2F56A
	buffer_load_dwordx4 a[84:87], v31, s[20:23], 0 offen offset:1024// 000000014600: E05C1400 8085541F
	v_mfma_f32_16x16x32_fp8_fp8 v[176:179], a[108:109], v[124:125], v[176:179]// 000000014608: D3F300B0 0EC2F96C
	v_mfma_f32_16x16x32_fp8_fp8 v[176:179], a[110:111], v[126:127], v[176:179]// 000000014610: D3F300B0 0EC2FD6E
	v_mfma_f32_16x16x32_fp8_fp8 v[180:183], a[112:113], v[112:113], 0// 000000014618: D3F300B4 0A02E170
	v_mfma_f32_16x16x32_fp8_fp8 v[180:183], a[114:115], v[114:115], v[180:183]// 000000014620: D3F300B4 0ED2E572
	buffer_load_dwordx4 a[88:91], v32, s[20:23], 0 offen offset:1024// 000000014628: E05C1400 80855820
	v_mfma_f32_16x16x32_fp8_fp8 v[180:183], a[116:117], v[116:117], v[180:183]// 000000014630: D3F300B4 0ED2E974
	v_mfma_f32_16x16x32_fp8_fp8 v[180:183], a[118:119], v[118:119], v[180:183]// 000000014638: D3F300B4 0ED2ED76
	v_mfma_f32_16x16x32_fp8_fp8 v[180:183], a[120:121], v[120:121], v[180:183]// 000000014640: D3F300B4 0ED2F178
	v_mfma_f32_16x16x32_fp8_fp8 v[180:183], a[122:123], v[122:123], v[180:183]// 000000014648: D3F300B4 0ED2F57A
	buffer_load_dwordx4 a[92:95], v33, s[20:23], 0 offen offset:1024// 000000014650: E05C1400 80855C21
	v_mfma_f32_16x16x32_fp8_fp8 v[180:183], a[124:125], v[124:125], v[180:183]// 000000014658: D3F300B4 0ED2F97C
	s_lshr_b32 s57, s70, 4                                     // 000000014660: 8F398446
	s_add_u32 s57, 48, s57                                     // 000000014664: 803939B0
	v_mfma_f32_16x16x32_fp8_fp8 v[180:183], a[126:127], v[126:127], v[180:183]// 000000014668: D3F300B4 0ED2FD7E
	s_cmp_ge_u32 s57, s73                                      // 000000014670: BF094939
	s_cselect_b32 s56, 0, s56                                  // 000000014674: 85383880
	v_mfma_f32_16x16x32_fp8_fp8 v[184:187], a[96:97], v[128:129], 0// 000000014678: D3F300B8 0A030160
	v_mfma_f32_16x16x32_fp8_fp8 v[184:187], a[98:99], v[130:131], v[184:187]// 000000014680: D3F300B8 0EE30562
	v_mfma_f32_16x16x32_fp8_fp8 v[184:187], a[100:101], v[132:133], v[184:187]// 000000014688: D3F300B8 0EE30964
	v_mfma_f32_16x16x32_fp8_fp8 v[184:187], a[102:103], v[134:135], v[184:187]// 000000014690: D3F300B8 0EE30D66
	v_mfma_f32_16x16x32_fp8_fp8 v[184:187], a[104:105], v[136:137], v[184:187]// 000000014698: D3F300B8 0EE31168
	v_mfma_f32_16x16x32_fp8_fp8 v[184:187], a[106:107], v[138:139], v[184:187]// 0000000146A0: D3F300B8 0EE3156A
	v_mfma_f32_16x16x32_fp8_fp8 v[184:187], a[108:109], v[140:141], v[184:187]// 0000000146A8: D3F300B8 0EE3196C
	v_mfma_f32_16x16x32_fp8_fp8 v[184:187], a[110:111], v[142:143], v[184:187]// 0000000146B0: D3F300B8 0EE31D6E
	v_mfma_f32_16x16x32_fp8_fp8 v[188:191], a[112:113], v[128:129], 0// 0000000146B8: D3F300BC 0A030170
	v_mfma_f32_16x16x32_fp8_fp8 v[188:191], a[114:115], v[130:131], v[188:191]// 0000000146C0: D3F300BC 0EF30572
	v_mfma_f32_16x16x32_fp8_fp8 v[188:191], a[116:117], v[132:133], v[188:191]// 0000000146C8: D3F300BC 0EF30974
	v_mfma_f32_16x16x32_fp8_fp8 v[188:191], a[118:119], v[134:135], v[188:191]// 0000000146D0: D3F300BC 0EF30D76
	v_mfma_f32_16x16x32_fp8_fp8 v[188:191], a[120:121], v[136:137], v[188:191]// 0000000146D8: D3F300BC 0EF31178
	v_mfma_f32_16x16x32_fp8_fp8 v[188:191], a[122:123], v[138:139], v[188:191]// 0000000146E0: D3F300BC 0EF3157A
	v_mfma_f32_16x16x32_fp8_fp8 v[188:191], a[124:125], v[140:141], v[188:191]// 0000000146E8: D3F300BC 0EF3197C
	v_mfma_f32_16x16x32_fp8_fp8 v[188:191], a[126:127], v[142:143], v[188:191]// 0000000146F0: D3F300BC 0EF31D7E
	v_mfma_f32_16x16x32_fp8_fp8 v[192:195], a[96:97], v[144:145], 0// 0000000146F8: D3F300C0 0A032160
	v_mfma_f32_16x16x32_fp8_fp8 v[192:195], a[98:99], v[146:147], v[192:195]// 000000014700: D3F300C0 0F032562
	v_mfma_f32_16x16x32_fp8_fp8 v[192:195], a[100:101], v[148:149], v[192:195]// 000000014708: D3F300C0 0F032964
	v_mfma_f32_16x16x32_fp8_fp8 v[192:195], a[102:103], v[150:151], v[192:195]// 000000014710: D3F300C0 0F032D66
	v_mfma_f32_16x16x32_fp8_fp8 v[192:195], a[104:105], v[152:153], v[192:195]// 000000014718: D3F300C0 0F033168
	v_mfma_f32_16x16x32_fp8_fp8 v[192:195], a[106:107], v[154:155], v[192:195]// 000000014720: D3F300C0 0F03356A
	v_mfma_f32_16x16x32_fp8_fp8 v[192:195], a[108:109], v[156:157], v[192:195]// 000000014728: D3F300C0 0F03396C
	v_mfma_f32_16x16x32_fp8_fp8 v[192:195], a[110:111], v[158:159], v[192:195]// 000000014730: D3F300C0 0F033D6E
	v_mfma_f32_16x16x32_fp8_fp8 v[196:199], a[112:113], v[144:145], 0// 000000014738: D3F300C4 0A032170
	v_mfma_f32_16x16x32_fp8_fp8 v[196:199], a[114:115], v[146:147], v[196:199]// 000000014740: D3F300C4 0F132572
	v_mfma_f32_16x16x32_fp8_fp8 v[196:199], a[116:117], v[148:149], v[196:199]// 000000014748: D3F300C4 0F132974
	v_mfma_f32_16x16x32_fp8_fp8 v[196:199], a[118:119], v[150:151], v[196:199]// 000000014750: D3F300C4 0F132D76
	v_mfma_f32_16x16x32_fp8_fp8 v[196:199], a[120:121], v[152:153], v[196:199]// 000000014758: D3F300C4 0F133178
	v_mfma_f32_16x16x32_fp8_fp8 v[196:199], a[122:123], v[154:155], v[196:199]// 000000014760: D3F300C4 0F13357A
	v_mfma_f32_16x16x32_fp8_fp8 v[196:199], a[124:125], v[156:157], v[196:199]// 000000014768: D3F300C4 0F13397C
	v_mfma_f32_16x16x32_fp8_fp8 v[196:199], a[126:127], v[158:159], v[196:199]// 000000014770: D3F300C4 0F133D7E
	v_add_u32_e32 v1, s56, v1                                  // 000000014778: 68020238
	s_addk_i32 s70, 0x100                                      // 00000001477C: B7460100
	s_cmp_lt_i32 s70, s71                                      // 000000014780: BF044746
	s_cbranch_scc0 label_4963                                  // 000000014784: BF840001
	s_branch label_3A42                                        // 000000014788: BF82F0DF

000000000001478c <label_4963>:
	s_nop 0                                                    // 00000001478C: BF800000
	s_nop 0                                                    // 000000014790: BF800000
	s_branch label_5887                                        // 000000014794: BF820F21

0000000000014798 <label_4966>:
	s_waitcnt vmcnt(8) lgkmcnt(0)                              // 000000014798: BF8C0078
	v_mul_u32_u24_dpp v64, v17, v54 row_newbcast:0 row_mask:0xf bank_mask:0xf// 00000001479C: 10806CFA FF015011
	v_mul_u32_u24_dpp v65, v17, v54 row_newbcast:4 row_mask:0xf bank_mask:0xf// 0000000147A4: 10826CFA FF015411
	v_mul_u32_u24_dpp v66, v17, v54 row_newbcast:8 row_mask:0xf bank_mask:0xf// 0000000147AC: 10846CFA FF015811
	v_mul_u32_u24_dpp v67, v17, v54 row_newbcast:12 row_mask:0xf bank_mask:0xf// 0000000147B4: 10866CFA FF015C11
	v_add_u32_e32 v26, v64, v5                                 // 0000000147BC: 68340B40
	v_add_u32_e32 v27, v65, v5                                 // 0000000147C0: 68360B41
	v_add_u32_e32 v28, v66, v5                                 // 0000000147C4: 68380B42
	v_add_u32_e32 v29, v67, v5                                 // 0000000147C8: 683A0B43
	v_mul_u32_u24_dpp v64, v17, v63 quad_perm:[0,0,0,0] row_mask:0xf bank_mask:0xf// 0000000147CC: 10807EFA FF000011
	v_add_u32_e32 v3, v64, v59                                 // 0000000147D4: 68067740
	v_mul_u32_u24_dpp v64, v17, v63 quad_perm:[0,0,0,0] row_mask:0xf bank_mask:0xf// 0000000147D8: 10807EFA FF000011
	v_add_u32_e32 v56, v64, v60                                // 0000000147E0: 68707940
	v_mfma_f32_16x16x32_fp8_fp8 v[112:115], a[0:1], v[80:81], 0// 0000000147E4: D3F30070 0A02A100
	buffer_load_dwordx4 a[32:35], v26, s[16:19], 0 offen       // 0000000147EC: E05C1000 8084201A
	v_mfma_f32_16x16x32_fp8_fp8 v[112:115], a[2:3], v[82:83], v[112:115]// 0000000147F4: D3F30070 0DC2A502
	v_mfma_f32_16x16x32_fp8_fp8 v[112:115], a[4:5], v[84:85], v[112:115]// 0000000147FC: D3F30070 0DC2A904
	buffer_load_dword v16, v1, s[24:27], 0 offen               // 000000014804: E0501000 80061001
	v_mfma_f32_16x16x32_fp8_fp8 v[112:115], a[6:7], v[86:87], v[112:115]// 00000001480C: D3F30070 0DC2AD06
	v_mfma_f32_16x16x32_fp8_fp8 v[116:119], a[8:9], v[80:81], 0// 000000014814: D3F30074 0A02A108
	buffer_load_dwordx4 a[36:39], v26, s[16:19], 0 offen offset:1024// 00000001481C: E05C1400 8084241A
	v_mfma_f32_16x16x32_fp8_fp8 v[116:119], a[10:11], v[82:83], v[116:119]// 000000014824: D3F30074 0DD2A50A
	v_mfma_f32_16x16x32_fp8_fp8 v[116:119], a[12:13], v[84:85], v[116:119]// 00000001482C: D3F30074 0DD2A90C
	v_mfma_f32_16x16x32_fp8_fp8 v[116:119], a[14:15], v[86:87], v[116:119]// 000000014834: D3F30074 0DD2AD0E
	v_mfma_f32_16x16x32_fp8_fp8 v[120:123], a[16:17], v[80:81], 0// 00000001483C: D3F30078 0A02A110
	buffer_load_dwordx4 a[40:43], v27, s[16:19], 0 offen       // 000000014844: E05C1000 8084281B
	v_mfma_f32_16x16x32_fp8_fp8 v[120:123], a[18:19], v[82:83], v[120:123]// 00000001484C: D3F30078 0DE2A512
	v_mfma_f32_16x16x32_fp8_fp8 v[120:123], a[20:21], v[84:85], v[120:123]// 000000014854: D3F30078 0DE2A914
	v_mfma_f32_16x16x32_fp8_fp8 v[120:123], a[22:23], v[86:87], v[120:123]// 00000001485C: D3F30078 0DE2AD16
	v_mfma_f32_16x16x32_fp8_fp8 v[124:127], a[24:25], v[80:81], 0// 000000014864: D3F3007C 0A02A118
	buffer_load_dwordx4 a[44:47], v27, s[16:19], 0 offen offset:1024// 00000001486C: E05C1400 80842C1B
	v_mfma_f32_16x16x32_fp8_fp8 v[124:127], a[26:27], v[82:83], v[124:127]// 000000014874: D3F3007C 0DF2A51A
	v_mfma_f32_16x16x32_fp8_fp8 v[124:127], a[28:29], v[84:85], v[124:127]// 00000001487C: D3F3007C 0DF2A91C
	v_mfma_f32_16x16x32_fp8_fp8 v[124:127], a[30:31], v[86:87], v[124:127]// 000000014884: D3F3007C 0DF2AD1E
	v_mfma_f32_16x16x32_fp8_fp8 v[128:131], a[0:1], v[88:89], 0// 00000001488C: D3F30080 0A02B100
	v_mfma_f32_16x16x32_fp8_fp8 v[128:131], a[2:3], v[90:91], v[128:131]// 000000014894: D3F30080 0E02B502
	v_mfma_f32_16x16x32_fp8_fp8 v[128:131], a[4:5], v[92:93], v[128:131]// 00000001489C: D3F30080 0E02B904
	v_mfma_f32_16x16x32_fp8_fp8 v[128:131], a[6:7], v[94:95], v[128:131]// 0000000148A4: D3F30080 0E02BD06
	v_mfma_f32_16x16x32_fp8_fp8 v[132:135], a[8:9], v[88:89], 0// 0000000148AC: D3F30084 0A02B108
	v_mfma_f32_16x16x32_fp8_fp8 v[132:135], a[10:11], v[90:91], v[132:135]// 0000000148B4: D3F30084 0E12B50A
	v_mfma_f32_16x16x32_fp8_fp8 v[132:135], a[12:13], v[92:93], v[132:135]// 0000000148BC: D3F30084 0E12B90C
	v_mfma_f32_16x16x32_fp8_fp8 v[132:135], a[14:15], v[94:95], v[132:135]// 0000000148C4: D3F30084 0E12BD0E
	v_mfma_f32_16x16x32_fp8_fp8 v[136:139], a[16:17], v[88:89], 0// 0000000148CC: D3F30088 0A02B110
	v_mfma_f32_16x16x32_fp8_fp8 v[136:139], a[18:19], v[90:91], v[136:139]// 0000000148D4: D3F30088 0E22B512
	v_mfma_f32_16x16x32_fp8_fp8 v[136:139], a[20:21], v[92:93], v[136:139]// 0000000148DC: D3F30088 0E22B914
	v_mfma_f32_16x16x32_fp8_fp8 v[136:139], a[22:23], v[94:95], v[136:139]// 0000000148E4: D3F30088 0E22BD16
	v_mfma_f32_16x16x32_fp8_fp8 v[140:143], a[24:25], v[88:89], 0// 0000000148EC: D3F3008C 0A02B118
	v_mfma_f32_16x16x32_fp8_fp8 v[140:143], a[26:27], v[90:91], v[140:143]// 0000000148F4: D3F3008C 0E32B51A
	v_mfma_f32_16x16x32_fp8_fp8 v[140:143], a[28:29], v[92:93], v[140:143]// 0000000148FC: D3F3008C 0E32B91C
	v_mfma_f32_16x16x32_fp8_fp8 v[140:143], a[30:31], v[94:95], v[140:143]// 000000014904: D3F3008C 0E32BD1E
	v_mfma_f32_16x16x32_fp8_fp8 v[144:147], a[0:1], v[96:97], 0// 00000001490C: D3F30090 0A02C100
	v_mfma_f32_16x16x32_fp8_fp8 v[144:147], a[2:3], v[98:99], v[144:147]// 000000014914: D3F30090 0E42C502
	v_mfma_f32_16x16x32_fp8_fp8 v[144:147], a[4:5], v[100:101], v[144:147]// 00000001491C: D3F30090 0E42C904
	v_mfma_f32_16x16x32_fp8_fp8 v[144:147], a[6:7], v[102:103], v[144:147]// 000000014924: D3F30090 0E42CD06
	v_mfma_f32_16x16x32_fp8_fp8 v[148:151], a[8:9], v[96:97], 0// 00000001492C: D3F30094 0A02C108
	v_mfma_f32_16x16x32_fp8_fp8 v[148:151], a[10:11], v[98:99], v[148:151]// 000000014934: D3F30094 0E52C50A
	v_mfma_f32_16x16x32_fp8_fp8 v[148:151], a[12:13], v[100:101], v[148:151]// 00000001493C: D3F30094 0E52C90C
	v_mfma_f32_16x16x32_fp8_fp8 v[148:151], a[14:15], v[102:103], v[148:151]// 000000014944: D3F30094 0E52CD0E
	v_mfma_f32_16x16x32_fp8_fp8 v[152:155], a[16:17], v[96:97], 0// 00000001494C: D3F30098 0A02C110
	v_mfma_f32_16x16x32_fp8_fp8 v[152:155], a[18:19], v[98:99], v[152:155]// 000000014954: D3F30098 0E62C512
	v_mfma_f32_16x16x32_fp8_fp8 v[152:155], a[20:21], v[100:101], v[152:155]// 00000001495C: D3F30098 0E62C914
	v_mfma_f32_16x16x32_fp8_fp8 v[152:155], a[22:23], v[102:103], v[152:155]// 000000014964: D3F30098 0E62CD16
	v_mfma_f32_16x16x32_fp8_fp8 v[156:159], a[24:25], v[96:97], 0// 00000001496C: D3F3009C 0A02C118
	v_mfma_f32_16x16x32_fp8_fp8 v[156:159], a[26:27], v[98:99], v[156:159]// 000000014974: D3F3009C 0E72C51A
	v_mfma_f32_16x16x32_fp8_fp8 v[156:159], a[28:29], v[100:101], v[156:159]// 00000001497C: D3F3009C 0E72C91C
	v_mfma_f32_16x16x32_fp8_fp8 v[156:159], a[30:31], v[102:103], v[156:159]// 000000014984: D3F3009C 0E72CD1E
	buffer_load_dword v43, v3, s[32:35], 0 offen               // 00000001498C: E0501000 80082B03
	v_mov_b32_dpp v64, v42 row_shr:4 row_mask:0xf bank_mask:0xf// 000000014994: 7E8002FA FF01142A
	v_mov_b32_dpp v65, v42 row_shl:4 row_mask:0xf bank_mask:0xf// 00000001499C: 7E8202FA FF01042A
	v_cndmask_b32_e64 v248, v42, v64, s[44:45]                 // 0000000149A4: D10000F8 00B2812A
	v_cndmask_b32_e64 v249, v65, v42, s[44:45]                 // 0000000149AC: D10000F9 00B25541
	v_mov_b32_dpp v64, v248 row_shr:8 row_mask:0xf bank_mask:0xf// 0000000149B4: 7E8002FA FF0118F8
	v_mov_b32_dpp v65, v248 row_shl:8 row_mask:0xf bank_mask:0xf// 0000000149BC: 7E8202FA FF0108F8
	v_mov_b32_dpp v66, v249 row_shr:8 row_mask:0xf bank_mask:0xf// 0000000149C4: 7E8402FA FF0118F9
	v_mov_b32_dpp v67, v249 row_shl:8 row_mask:0xf bank_mask:0xf// 0000000149CC: 7E8602FA FF0108F9
	v_mov_b32_e32 v68, v248                                    // 0000000149D4: 7E8803F8
	v_mov_b32_e32 v69, v249                                    // 0000000149D8: 7E8A03F9
	v_cndmask_b32_e64 v248, v68, v64, s[42:43]                 // 0000000149DC: D10000F8 00AA8144
	v_cndmask_b32_e64 v250, v68, v65, s[78:79]                 // 0000000149E4: D10000FA 013A8344
	v_cndmask_b32_e64 v249, v69, v66, s[42:43]                 // 0000000149EC: D10000F9 00AA8545
	v_cndmask_b32_e64 v251, v69, v67, s[78:79]                 // 0000000149F4: D10000FB 013A8745
	v_mov_b32_dpp v64, v57 row_shr:4 row_mask:0xf bank_mask:0xf// 0000000149FC: 7E8002FA FF011439
	v_mov_b32_dpp v65, v57 row_shl:4 row_mask:0xf bank_mask:0xf// 000000014A04: 7E8202FA FF010439
	v_cndmask_b32_e64 v252, v57, v64, s[44:45]                 // 000000014A0C: D10000FC 00B28139
	v_cndmask_b32_e64 v253, v65, v57, s[44:45]                 // 000000014A14: D10000FD 00B27341
	v_mov_b32_dpp v64, v252 row_shr:8 row_mask:0xf bank_mask:0xf// 000000014A1C: 7E8002FA FF0118FC
	v_mov_b32_dpp v65, v252 row_shl:8 row_mask:0xf bank_mask:0xf// 000000014A24: 7E8202FA FF0108FC
	v_mov_b32_dpp v66, v253 row_shr:8 row_mask:0xf bank_mask:0xf// 000000014A2C: 7E8402FA FF0118FD
	v_mov_b32_dpp v67, v253 row_shl:8 row_mask:0xf bank_mask:0xf// 000000014A34: 7E8602FA FF0108FD
	v_mov_b32_e32 v68, v252                                    // 000000014A3C: 7E8803FC
	v_mov_b32_e32 v69, v253                                    // 000000014A40: 7E8A03FD
	v_cndmask_b32_e64 v252, v68, v64, s[42:43]                 // 000000014A44: D10000FC 00AA8144
	v_cndmask_b32_e64 v254, v68, v65, s[78:79]                 // 000000014A4C: D10000FE 013A8344
	v_cndmask_b32_e64 v253, v69, v66, s[42:43]                 // 000000014A54: D10000FD 00AA8545
	v_cndmask_b32_e64 v255, v69, v67, s[78:79]                 // 000000014A5C: D10000FF 013A8745
	buffer_load_dword v58, v56, s[36:39], 0 offen              // 000000014A64: E0501000 80093A38
	v_mul_f32_e32 v112, v18, v112                              // 000000014A6C: 0AE0E112
	v_mul_f32_e32 v113, v18, v113                              // 000000014A70: 0AE2E312
	v_mul_f32_e32 v114, v18, v114                              // 000000014A74: 0AE4E512
	v_mul_f32_e32 v115, v18, v115                              // 000000014A78: 0AE6E712
	v_mul_f32_e32 v116, v18, v116                              // 000000014A7C: 0AE8E912
	v_mul_f32_e32 v117, v18, v117                              // 000000014A80: 0AEAEB12
	v_mul_f32_e32 v118, v18, v118                              // 000000014A84: 0AECED12
	v_mul_f32_e32 v119, v18, v119                              // 000000014A88: 0AEEEF12
	v_mul_f32_e32 v120, v18, v120                              // 000000014A8C: 0AF0F112
	v_mul_f32_e32 v121, v18, v121                              // 000000014A90: 0AF2F312
	v_mul_f32_e32 v122, v18, v122                              // 000000014A94: 0AF4F512
	v_mul_f32_e32 v123, v18, v123                              // 000000014A98: 0AF6F712
	v_mul_f32_e32 v124, v18, v124                              // 000000014A9C: 0AF8F912
	v_mul_f32_e32 v125, v18, v125                              // 000000014AA0: 0AFAFB12
	v_mul_f32_e32 v126, v18, v126                              // 000000014AA4: 0AFCFD12
	v_mul_f32_e32 v127, v18, v127                              // 000000014AA8: 0AFEFF12
	buffer_load_dwordx4 a[48:51], v28, s[16:19], 0 offen       // 000000014AAC: E05C1000 8084301C
	v_mul_f32_dpp v112, v248, v112 quad_perm:[0,0,0,0] row_mask:0xf bank_mask:0xf// 000000014AB4: 0AE0E0FA FF0000F8
	v_mul_f32_dpp v113, v248, v113 quad_perm:[1,1,1,1] row_mask:0xf bank_mask:0xf// 000000014ABC: 0AE2E2FA FF0055F8
	v_mul_f32_dpp v114, v248, v114 quad_perm:[2,2,2,2] row_mask:0xf bank_mask:0xf// 000000014AC4: 0AE4E4FA FF00AAF8
	v_mul_f32_dpp v115, v248, v115 quad_perm:[3,3,3,3] row_mask:0xf bank_mask:0xf// 000000014ACC: 0AE6E6FA FF00FFF8
	v_mul_f32_dpp v116, v249, v116 quad_perm:[0,0,0,0] row_mask:0xf bank_mask:0xf// 000000014AD4: 0AE8E8FA FF0000F9
	v_mul_f32_dpp v117, v249, v117 quad_perm:[1,1,1,1] row_mask:0xf bank_mask:0xf// 000000014ADC: 0AEAEAFA FF0055F9
	v_mul_f32_dpp v118, v249, v118 quad_perm:[2,2,2,2] row_mask:0xf bank_mask:0xf// 000000014AE4: 0AECECFA FF00AAF9
	v_mul_f32_dpp v119, v249, v119 quad_perm:[3,3,3,3] row_mask:0xf bank_mask:0xf// 000000014AEC: 0AEEEEFA FF00FFF9
	v_mul_f32_dpp v120, v250, v120 quad_perm:[0,0,0,0] row_mask:0xf bank_mask:0xf// 000000014AF4: 0AF0F0FA FF0000FA
	v_mul_f32_dpp v121, v250, v121 quad_perm:[1,1,1,1] row_mask:0xf bank_mask:0xf// 000000014AFC: 0AF2F2FA FF0055FA
	v_mul_f32_dpp v122, v250, v122 quad_perm:[2,2,2,2] row_mask:0xf bank_mask:0xf// 000000014B04: 0AF4F4FA FF00AAFA
	v_mul_f32_dpp v123, v250, v123 quad_perm:[3,3,3,3] row_mask:0xf bank_mask:0xf// 000000014B0C: 0AF6F6FA FF00FFFA
	v_mul_f32_dpp v124, v251, v124 quad_perm:[0,0,0,0] row_mask:0xf bank_mask:0xf// 000000014B14: 0AF8F8FA FF0000FB
	v_mul_f32_dpp v125, v251, v125 quad_perm:[1,1,1,1] row_mask:0xf bank_mask:0xf// 000000014B1C: 0AFAFAFA FF0055FB
	v_mul_f32_dpp v126, v251, v126 quad_perm:[2,2,2,2] row_mask:0xf bank_mask:0xf// 000000014B24: 0AFCFCFA FF00AAFB
	v_mul_f32_dpp v127, v251, v127 quad_perm:[3,3,3,3] row_mask:0xf bank_mask:0xf// 000000014B2C: 0AFEFEFA FF00FFFB
	buffer_load_dwordx4 a[52:55], v28, s[16:19], 0 offen offset:1024// 000000014B34: E05C1400 8084341C
	s_cmp_le_i32 s90, s89                                      // 000000014B3C: BF05595A
	s_cbranch_scc1 label_4AC2                                  // 000000014B40: BF850071
	v_mov_b32_e32 v66, 0xff800000                              // 000000014B44: 7E8402FF FF800000
	s_mov_b32 s60, s90                                         // 000000014B4C: BEBC005A
	s_add_u32 s61, s89, 0xff                                   // 000000014B50: 803DFF59 000000FF
	v_mov_b32_e32 v64, s61                                     // 000000014B58: 7E80023D
	v_lshrrev_b32_e32 v240, 4, v0                              // 000000014B5C: 21E00084
	v_mul_i32_i24_e32 v240, 4, v240                            // 000000014B60: 0DE1E084
	v_add_u32_e32 v240, s60, v240                              // 000000014B64: 69E1E03C
	s_mov_b32 s61, 0                                           // 000000014B68: BEBD0080
	s_mul_i32 s60, 16, s7                                      // 000000014B6C: 923C0790
	v_sub_u32_e64 v240, v240, s61                              // 000000014B70: D13500F0 00007BF0
	v_add_u32_e32 v240, s60, v240                              // 000000014B78: 69E1E03C
	v_add_u32_e32 v241, 1, v240                                // 000000014B7C: 69E3E081
	v_add_u32_e32 v242, 2, v240                                // 000000014B80: 69E5E082
	v_add_u32_e32 v243, 3, v240                                // 000000014B84: 69E7E083
	v_cmp_le_u32_e64 s[40:41], v240, v64                       // 000000014B88: D0CB0028 000281F0
	v_add_u32_e32 v240, 64, v240                               // 000000014B90: 69E1E0C0
	s_nop 0                                                    // 000000014B94: BF800000
	v_cndmask_b32_e64 v112, v66, v112, s[40:41]                // 000000014B98: D1000070 00A2E142
	v_cmp_le_u32_e64 s[40:41], v241, v64                       // 000000014BA0: D0CB0028 000281F1
	v_add_u32_e32 v241, 64, v241                               // 000000014BA8: 69E3E2C0
	s_nop 0                                                    // 000000014BAC: BF800000
	v_cndmask_b32_e64 v113, v66, v113, s[40:41]                // 000000014BB0: D1000071 00A2E342
	v_cmp_le_u32_e64 s[40:41], v242, v64                       // 000000014BB8: D0CB0028 000281F2
	v_add_u32_e32 v242, 64, v242                               // 000000014BC0: 69E5E4C0
	s_nop 0                                                    // 000000014BC4: BF800000
	v_cndmask_b32_e64 v114, v66, v114, s[40:41]                // 000000014BC8: D1000072 00A2E542
	v_cmp_le_u32_e64 s[40:41], v243, v64                       // 000000014BD0: D0CB0028 000281F3
	v_add_u32_e32 v243, 64, v243                               // 000000014BD8: 69E7E6C0
	s_nop 0                                                    // 000000014BDC: BF800000
	v_cndmask_b32_e64 v115, v66, v115, s[40:41]                // 000000014BE0: D1000073 00A2E742
	v_cmp_le_u32_e64 s[40:41], v240, v64                       // 000000014BE8: D0CB0028 000281F0
	v_add_u32_e32 v240, 64, v240                               // 000000014BF0: 69E1E0C0
	s_nop 0                                                    // 000000014BF4: BF800000
	v_cndmask_b32_e64 v116, v66, v116, s[40:41]                // 000000014BF8: D1000074 00A2E942
	v_cmp_le_u32_e64 s[40:41], v241, v64                       // 000000014C00: D0CB0028 000281F1
	v_add_u32_e32 v241, 64, v241                               // 000000014C08: 69E3E2C0
	s_nop 0                                                    // 000000014C0C: BF800000
	v_cndmask_b32_e64 v117, v66, v117, s[40:41]                // 000000014C10: D1000075 00A2EB42
	v_cmp_le_u32_e64 s[40:41], v242, v64                       // 000000014C18: D0CB0028 000281F2
	v_add_u32_e32 v242, 64, v242                               // 000000014C20: 69E5E4C0
	s_nop 0                                                    // 000000014C24: BF800000
	v_cndmask_b32_e64 v118, v66, v118, s[40:41]                // 000000014C28: D1000076 00A2ED42
	v_cmp_le_u32_e64 s[40:41], v243, v64                       // 000000014C30: D0CB0028 000281F3
	v_add_u32_e32 v243, 64, v243                               // 000000014C38: 69E7E6C0
	s_nop 0                                                    // 000000014C3C: BF800000
	v_cndmask_b32_e64 v119, v66, v119, s[40:41]                // 000000014C40: D1000077 00A2EF42
	v_cmp_le_u32_e64 s[40:41], v240, v64                       // 000000014C48: D0CB0028 000281F0
	v_add_u32_e32 v240, 64, v240                               // 000000014C50: 69E1E0C0
	s_nop 0                                                    // 000000014C54: BF800000
	v_cndmask_b32_e64 v120, v66, v120, s[40:41]                // 000000014C58: D1000078 00A2F142
	v_cmp_le_u32_e64 s[40:41], v241, v64                       // 000000014C60: D0CB0028 000281F1
	v_add_u32_e32 v241, 64, v241                               // 000000014C68: 69E3E2C0
	s_nop 0                                                    // 000000014C6C: BF800000
	v_cndmask_b32_e64 v121, v66, v121, s[40:41]                // 000000014C70: D1000079 00A2F342
	v_cmp_le_u32_e64 s[40:41], v242, v64                       // 000000014C78: D0CB0028 000281F2
	v_add_u32_e32 v242, 64, v242                               // 000000014C80: 69E5E4C0
	s_nop 0                                                    // 000000014C84: BF800000
	v_cndmask_b32_e64 v122, v66, v122, s[40:41]                // 000000014C88: D100007A 00A2F542
	v_cmp_le_u32_e64 s[40:41], v243, v64                       // 000000014C90: D0CB0028 000281F3
	v_add_u32_e32 v243, 64, v243                               // 000000014C98: 69E7E6C0
	s_nop 0                                                    // 000000014C9C: BF800000
	v_cndmask_b32_e64 v123, v66, v123, s[40:41]                // 000000014CA0: D100007B 00A2F742
	v_cmp_le_u32_e64 s[40:41], v240, v64                       // 000000014CA8: D0CB0028 000281F0
	v_add_u32_e32 v240, 64, v240                               // 000000014CB0: 69E1E0C0
	s_nop 0                                                    // 000000014CB4: BF800000
	v_cndmask_b32_e64 v124, v66, v124, s[40:41]                // 000000014CB8: D100007C 00A2F942
	v_cmp_le_u32_e64 s[40:41], v241, v64                       // 000000014CC0: D0CB0028 000281F1
	v_add_u32_e32 v241, 64, v241                               // 000000014CC8: 69E3E2C0
	s_nop 0                                                    // 000000014CCC: BF800000
	v_cndmask_b32_e64 v125, v66, v125, s[40:41]                // 000000014CD0: D100007D 00A2FB42
	v_cmp_le_u32_e64 s[40:41], v242, v64                       // 000000014CD8: D0CB0028 000281F2
	v_add_u32_e32 v242, 64, v242                               // 000000014CE0: 69E5E4C0
	s_nop 0                                                    // 000000014CE4: BF800000
	v_cndmask_b32_e64 v126, v66, v126, s[40:41]                // 000000014CE8: D100007E 00A2FD42
	v_cmp_le_u32_e64 s[40:41], v243, v64                       // 000000014CF0: D0CB0028 000281F3
	v_add_u32_e32 v243, 64, v243                               // 000000014CF8: 69E7E6C0
	s_nop 0                                                    // 000000014CFC: BF800000
	v_cndmask_b32_e64 v127, v66, v127, s[40:41]                // 000000014D00: D100007F 00A2FF42

0000000000014d08 <label_4AC2>:
	v_mov_b32_e32 v48, v112                                    // 000000014D08: 7E600370
	v_max3_f32 v48, v112, v113, v48                            // 000000014D0C: D1D30030 04C2E370
	v_max3_f32 v48, v114, v115, v48                            // 000000014D14: D1D30030 04C2E772
	v_max3_f32 v48, v116, v117, v48                            // 000000014D1C: D1D30030 04C2EB74
	v_max3_f32 v48, v118, v119, v48                            // 000000014D24: D1D30030 04C2EF76
	v_max3_f32 v48, v120, v121, v48                            // 000000014D2C: D1D30030 04C2F378
	v_max3_f32 v48, v122, v123, v48                            // 000000014D34: D1D30030 04C2F77A
	v_max3_f32 v48, v124, v125, v48                            // 000000014D3C: D1D30030 04C2FB7C
	v_max3_f32 v48, v126, v127, v48                            // 000000014D44: D1D30030 04C2FF7E
	ds_write_b32 v8, v48 offset:16896                          // 000000014D4C: D81A4200 00003008
	buffer_load_dwordx4 a[56:59], v29, s[16:19], 0 offen       // 000000014D54: E05C1000 8084381D
	v_mul_u32_u24_dpp v64, v17, v54 row_newbcast:1 row_mask:0xf bank_mask:0xf// 000000014D5C: 10806CFA FF015111
	v_mul_u32_u24_dpp v65, v17, v54 row_newbcast:5 row_mask:0xf bank_mask:0xf// 000000014D64: 10826CFA FF015511
	v_mul_u32_u24_dpp v66, v17, v54 row_newbcast:9 row_mask:0xf bank_mask:0xf// 000000014D6C: 10846CFA FF015911
	v_mul_u32_u24_dpp v67, v17, v54 row_newbcast:13 row_mask:0xf bank_mask:0xf// 000000014D74: 10866CFA FF015D11
	v_add_u32_e32 v34, v64, v6                                 // 000000014D7C: 68440D40
	v_add_u32_e32 v35, v65, v6                                 // 000000014D80: 68460D41
	v_add_u32_e32 v36, v66, v6                                 // 000000014D84: 68480D42
	v_add_u32_e32 v37, v67, v6                                 // 000000014D88: 684A0D43
	v_mul_f32_e32 v208, v49, v208                              // 000000014D8C: 0BA1A131
	v_mul_f32_e32 v209, v49, v209                              // 000000014D90: 0BA3A331
	v_mul_f32_e32 v210, v49, v210                              // 000000014D94: 0BA5A531
	v_mul_f32_e32 v211, v49, v211                              // 000000014D98: 0BA7A731
	v_mul_f32_e32 v212, v49, v212                              // 000000014D9C: 0BA9A931
	v_mul_f32_e32 v213, v49, v213                              // 000000014DA0: 0BABAB31
	v_mul_f32_e32 v214, v49, v214                              // 000000014DA4: 0BADAD31
	v_mul_f32_e32 v215, v49, v215                              // 000000014DA8: 0BAFAF31
	s_waitcnt lgkmcnt(0)                                       // 000000014DAC: BF8CC07F
	s_barrier                                                  // 000000014DB0: BF8A0000
	ds_read_b32 v64, v7 offset:16896                           // 000000014DB4: D86C4200 40000007
	ds_read_b32 v65, v7 offset:16960                           // 000000014DBC: D86C4240 41000007
	ds_read_b32 v66, v7 offset:17024                           // 000000014DC4: D86C4280 42000007
	ds_read_b32 v67, v7 offset:17088                           // 000000014DCC: D86C42C0 43000007
	ds_read_b32 v68, v7 offset:17152                           // 000000014DD4: D86C4300 44000007
	ds_read_b32 v69, v7 offset:17216                           // 000000014DDC: D86C4340 45000007
	ds_read_b32 v70, v7 offset:17280                           // 000000014DE4: D86C4380 46000007
	ds_read_b32 v71, v7 offset:17344                           // 000000014DEC: D86C43C0 47000007
	ds_read_b32 v72, v7 offset:17408                           // 000000014DF4: D86C4400 48000007
	ds_read_b32 v73, v7 offset:17472                           // 000000014DFC: D86C4440 49000007
	ds_read_b32 v74, v7 offset:17536                           // 000000014E04: D86C4480 4A000007
	ds_read_b32 v75, v7 offset:17600                           // 000000014E0C: D86C44C0 4B000007
	ds_read_b32 v76, v7 offset:17664                           // 000000014E14: D86C4500 4C000007
	ds_read_b32 v77, v7 offset:17728                           // 000000014E1C: D86C4540 4D000007
	ds_read_b32 v78, v7 offset:17792                           // 000000014E24: D86C4580 4E000007
	ds_read_b32 v79, v7 offset:17856                           // 000000014E2C: D86C45C0 4F000007
	buffer_load_dwordx4 a[60:63], v29, s[16:19], 0 offen offset:1024// 000000014E34: E05C1400 80843C1D
	v_mul_f32_e32 v176, v44, v176                              // 000000014E3C: 0B61612C
	v_mul_f32_e32 v177, v44, v177                              // 000000014E40: 0B63632C
	v_mul_f32_e32 v178, v44, v178                              // 000000014E44: 0B65652C
	v_mul_f32_e32 v179, v44, v179                              // 000000014E48: 0B67672C
	v_mul_f32_e32 v180, v44, v180                              // 000000014E4C: 0B69692C
	v_mul_f32_e32 v181, v44, v181                              // 000000014E50: 0B6B6B2C
	v_mul_f32_e32 v182, v44, v182                              // 000000014E54: 0B6D6D2C
	v_mul_f32_e32 v183, v44, v183                              // 000000014E58: 0B6F6F2C
	s_waitcnt lgkmcnt(0)                                       // 000000014E5C: BF8CC07F
	v_max3_f32 v48, v64, v65, v48                              // 000000014E60: D1D30030 04C28340
	v_max3_f32 v48, v66, v67, v48                              // 000000014E68: D1D30030 04C28742
	v_max3_f32 v48, v68, v69, v48                              // 000000014E70: D1D30030 04C28B44
	v_max3_f32 v48, v70, v71, v48                              // 000000014E78: D1D30030 04C28F46
	v_max3_f32 v48, v72, v73, v48                              // 000000014E80: D1D30030 04C29348
	v_max3_f32 v48, v74, v75, v48                              // 000000014E88: D1D30030 04C2974A
	v_max3_f32 v48, v76, v77, v48                              // 000000014E90: D1D30030 04C29B4C
	v_max3_f32 v48, v78, v79, v48                              // 000000014E98: D1D30030 04C29F4E
	buffer_load_dwordx4 a[96:99], v34, s[20:23], 0 offen       // 000000014EA0: E05C1000 80856022
	v_mov_b32_e32 v64, 0xff800000                              // 000000014EA8: 7E8002FF FF800000
	v_cmp_eq_u32_e64 s[40:41], v64, v11                        // 000000014EB0: D0CA0028 00021740
	s_nop 1                                                    // 000000014EB8: BF800001
	v_max_f32_e32 v15, v48, v11                                // 000000014EBC: 161E1730
	v_mul_f32_e32 v53, s64, v15                                // 000000014EC0: 0A6A1E40
	v_fma_f32 v112, v112, s64, -v53                            // 000000014EC4: D1CB0070 84D48170
	v_fma_f32 v113, v113, s64, -v53                            // 000000014ECC: D1CB0071 84D48171
	v_fma_f32 v114, v114, s64, -v53                            // 000000014ED4: D1CB0072 84D48172
	v_fma_f32 v115, v115, s64, -v53                            // 000000014EDC: D1CB0073 84D48173
	v_fma_f32 v116, v116, s64, -v53                            // 000000014EE4: D1CB0074 84D48174
	v_fma_f32 v117, v117, s64, -v53                            // 000000014EEC: D1CB0075 84D48175
	v_fma_f32 v118, v118, s64, -v53                            // 000000014EF4: D1CB0076 84D48176
	v_fma_f32 v119, v119, s64, -v53                            // 000000014EFC: D1CB0077 84D48177
	v_fma_f32 v120, v120, s64, -v53                            // 000000014F04: D1CB0078 84D48178
	v_fma_f32 v121, v121, s64, -v53                            // 000000014F0C: D1CB0079 84D48179
	v_fma_f32 v122, v122, s64, -v53                            // 000000014F14: D1CB007A 84D4817A
	v_fma_f32 v123, v123, s64, -v53                            // 000000014F1C: D1CB007B 84D4817B
	v_fma_f32 v124, v124, s64, -v53                            // 000000014F24: D1CB007C 84D4817C
	v_fma_f32 v125, v125, s64, -v53                            // 000000014F2C: D1CB007D 84D4817D
	v_fma_f32 v126, v126, s64, -v53                            // 000000014F34: D1CB007E 84D4817E
	v_fma_f32 v127, v127, s64, -v53                            // 000000014F3C: D1CB007F 84D4817F
	buffer_load_dwordx4 a[100:103], v35, s[20:23], 0 offen     // 000000014F44: E05C1000 80856423
	v_exp_f32_e32 v112, v112                                   // 000000014F4C: 7EE04170
	v_exp_f32_e32 v113, v113                                   // 000000014F50: 7EE24171
	v_exp_f32_e32 v114, v114                                   // 000000014F54: 7EE44172
	v_exp_f32_e32 v115, v115                                   // 000000014F58: 7EE64173
	v_exp_f32_e32 v116, v116                                   // 000000014F5C: 7EE84174
	v_exp_f32_e32 v117, v117                                   // 000000014F60: 7EEA4175
	v_exp_f32_e32 v118, v118                                   // 000000014F64: 7EEC4176
	v_exp_f32_e32 v119, v119                                   // 000000014F68: 7EEE4177
	v_exp_f32_e32 v120, v120                                   // 000000014F6C: 7EF04178
	v_exp_f32_e32 v121, v121                                   // 000000014F70: 7EF24179
	v_exp_f32_e32 v122, v122                                   // 000000014F74: 7EF4417A
	v_exp_f32_e32 v123, v123                                   // 000000014F78: 7EF6417B
	v_exp_f32_e32 v124, v124                                   // 000000014F7C: 7EF8417C
	v_exp_f32_e32 v125, v125                                   // 000000014F80: 7EFA417D
	v_exp_f32_e32 v126, v126                                   // 000000014F84: 7EFC417E
	v_exp_f32_e32 v127, v127                                   // 000000014F88: 7EFE417F
	buffer_load_dwordx4 a[104:107], v36, s[20:23], 0 offen     // 000000014F8C: E05C1000 80856824
	v_mul_f32_dpp v240, v252, v112 quad_perm:[0,0,0,0] row_mask:0xf bank_mask:0xf// 000000014F94: 0BE0E0FA FF0000FC
	v_mul_f32_dpp v241, v252, v113 quad_perm:[1,1,1,1] row_mask:0xf bank_mask:0xf// 000000014F9C: 0BE2E2FA FF0055FC
	v_mul_f32_dpp v242, v252, v114 quad_perm:[2,2,2,2] row_mask:0xf bank_mask:0xf// 000000014FA4: 0BE4E4FA FF00AAFC
	v_mul_f32_dpp v243, v252, v115 quad_perm:[3,3,3,3] row_mask:0xf bank_mask:0xf// 000000014FAC: 0BE6E6FA FF00FFFC
	v_mul_f32_dpp v244, v253, v116 quad_perm:[0,0,0,0] row_mask:0xf bank_mask:0xf// 000000014FB4: 0BE8E8FA FF0000FD
	v_mul_f32_dpp v245, v253, v117 quad_perm:[1,1,1,1] row_mask:0xf bank_mask:0xf// 000000014FBC: 0BEAEAFA FF0055FD
	v_mul_f32_dpp v246, v253, v118 quad_perm:[2,2,2,2] row_mask:0xf bank_mask:0xf// 000000014FC4: 0BECECFA FF00AAFD
	v_mul_f32_dpp v247, v253, v119 quad_perm:[3,3,3,3] row_mask:0xf bank_mask:0xf// 000000014FCC: 0BEEEEFA FF00FFFD
	v_mul_f32_dpp v248, v254, v120 quad_perm:[0,0,0,0] row_mask:0xf bank_mask:0xf// 000000014FD4: 0BF0F0FA FF0000FE
	v_mul_f32_dpp v249, v254, v121 quad_perm:[1,1,1,1] row_mask:0xf bank_mask:0xf// 000000014FDC: 0BF2F2FA FF0055FE
	v_mul_f32_dpp v250, v254, v122 quad_perm:[2,2,2,2] row_mask:0xf bank_mask:0xf// 000000014FE4: 0BF4F4FA FF00AAFE
	v_mul_f32_dpp v251, v254, v123 quad_perm:[3,3,3,3] row_mask:0xf bank_mask:0xf// 000000014FEC: 0BF6F6FA FF00FFFE
	v_mul_f32_dpp v252, v255, v124 quad_perm:[0,0,0,0] row_mask:0xf bank_mask:0xf// 000000014FF4: 0BF8F8FA FF0000FF
	v_mul_f32_dpp v253, v255, v125 quad_perm:[1,1,1,1] row_mask:0xf bank_mask:0xf// 000000014FFC: 0BFAFAFA FF0055FF
	v_mul_f32_dpp v254, v255, v126 quad_perm:[2,2,2,2] row_mask:0xf bank_mask:0xf// 000000015004: 0BFCFCFA FF00AAFF
	v_mul_f32_dpp v255, v255, v127 quad_perm:[3,3,3,3] row_mask:0xf bank_mask:0xf// 00000001500C: 0BFEFEFA FF00FFFF
	v_mov_b32_e32 v48, 0x358637bd                              // 000000015014: 7E6002FF 358637BD
	v_max3_f32 v48, |v240|, |v241|, v48                        // 00000001501C: D1D30330 04C3E3F0
	v_max3_f32 v48, |v242|, |v243|, v48                        // 000000015024: D1D30330 04C3E7F2
	v_max3_f32 v48, |v244|, |v245|, v48                        // 00000001502C: D1D30330 04C3EBF4
	v_max3_f32 v48, |v246|, |v247|, v48                        // 000000015034: D1D30330 04C3EFF6
	v_max3_f32 v48, |v248|, |v249|, v48                        // 00000001503C: D1D30330 04C3F3F8
	v_max3_f32 v48, |v250|, |v251|, v48                        // 000000015044: D1D30330 04C3F7FA
	v_max3_f32 v48, |v252|, |v253|, v48                        // 00000001504C: D1D30330 04C3FBFC
	v_max3_f32 v48, |v254|, |v255|, v48                        // 000000015054: D1D30330 04C3FFFE
	buffer_load_dwordx4 a[108:111], v37, s[20:23], 0 offen     // 00000001505C: E05C1000 80856C25
	ds_write_b32 v8, v48 offset:20992                          // 000000015064: D81A5200 00003008
	v_sub_f32_e32 v49, v11, v15                                // 00000001506C: 04621F0B
	v_cndmask_b32_e64 v49, v49, 0, s[40:41]                    // 000000015070: D1000031 00A10131
	v_mov_b32_e32 v11, v15                                     // 000000015078: 7E16030F
	v_mul_f32_e32 v49, s64, v49                                // 00000001507C: 0A626240
	v_exp_f32_e32 v49, v49                                     // 000000015080: 7E624131
	s_waitcnt lgkmcnt(0)                                       // 000000015084: BF8CC07F
	s_barrier                                                  // 000000015088: BF8A0000
	ds_read_b32 v64, v7 offset:20992                           // 00000001508C: D86C5200 40000007
	ds_read_b32 v65, v7 offset:21056                           // 000000015094: D86C5240 41000007
	ds_read_b32 v66, v7 offset:21120                           // 00000001509C: D86C5280 42000007
	ds_read_b32 v67, v7 offset:21184                           // 0000000150A4: D86C52C0 43000007
	ds_read_b32 v68, v7 offset:21248                           // 0000000150AC: D86C5300 44000007
	ds_read_b32 v69, v7 offset:21312                           // 0000000150B4: D86C5340 45000007
	ds_read_b32 v70, v7 offset:21376                           // 0000000150BC: D86C5380 46000007
	ds_read_b32 v71, v7 offset:21440                           // 0000000150C4: D86C53C0 47000007
	ds_read_b32 v72, v7 offset:21504                           // 0000000150CC: D86C5400 48000007
	ds_read_b32 v73, v7 offset:21568                           // 0000000150D4: D86C5440 49000007
	ds_read_b32 v74, v7 offset:21632                           // 0000000150DC: D86C5480 4A000007
	ds_read_b32 v75, v7 offset:21696                           // 0000000150E4: D86C54C0 4B000007
	ds_read_b32 v76, v7 offset:21760                           // 0000000150EC: D86C5500 4C000007
	ds_read_b32 v77, v7 offset:21824                           // 0000000150F4: D86C5540 4D000007
	ds_read_b32 v78, v7 offset:21888                           // 0000000150FC: D86C5580 4E000007
	ds_read_b32 v79, v7 offset:21952                           // 000000015104: D86C55C0 4F000007
	v_mul_f32_e32 v38, v49, v38                                // 00000001510C: 0A4C4D31
	v_mov_b32_e32 v15, v112                                    // 000000015110: 7E1E0370
	v_add_f32_e32 v15, v113, v15                               // 000000015114: 021E1F71
	v_add_f32_e32 v15, v114, v15                               // 000000015118: 021E1F72
	v_add_f32_e32 v15, v115, v15                               // 00000001511C: 021E1F73
	v_add_f32_e32 v15, v116, v15                               // 000000015120: 021E1F74
	v_add_f32_e32 v15, v117, v15                               // 000000015124: 021E1F75
	v_add_f32_e32 v15, v118, v15                               // 000000015128: 021E1F76
	v_add_f32_e32 v15, v119, v15                               // 00000001512C: 021E1F77
	v_add_f32_e32 v15, v120, v15                               // 000000015130: 021E1F78
	v_add_f32_e32 v15, v121, v15                               // 000000015134: 021E1F79
	v_add_f32_e32 v15, v122, v15                               // 000000015138: 021E1F7A
	v_add_f32_e32 v15, v123, v15                               // 00000001513C: 021E1F7B
	v_add_f32_e32 v15, v124, v15                               // 000000015140: 021E1F7C
	v_add_f32_e32 v15, v125, v15                               // 000000015144: 021E1F7D
	v_add_f32_e32 v15, v126, v15                               // 000000015148: 021E1F7E
	v_add_f32_e32 v15, v127, v15                               // 00000001514C: 021E1F7F
	v_add_f32_e32 v38, v15, v38                                // 000000015150: 024C4D0F
	s_waitcnt lgkmcnt(0)                                       // 000000015154: BF8CC07F
	v_max3_f32 v48, |v64|, |v65|, v48                          // 000000015158: D1D30330 04C28340
	v_max3_f32 v48, |v66|, |v67|, v48                          // 000000015160: D1D30330 04C28742
	v_max3_f32 v48, |v68|, |v69|, v48                          // 000000015168: D1D30330 04C28B44
	v_max3_f32 v48, |v70|, |v71|, v48                          // 000000015170: D1D30330 04C28F46
	v_max3_f32 v48, |v72|, |v73|, v48                          // 000000015178: D1D30330 04C29348
	v_max3_f32 v48, |v74|, |v75|, v48                          // 000000015180: D1D30330 04C2974A
	v_max3_f32 v48, |v76|, |v77|, v48                          // 000000015188: D1D30330 04C29B4C
	v_max3_f32 v48, |v78|, |v79|, v48                          // 000000015190: D1D30330 04C29F4E
	s_nop 2                                                    // 000000015198: BF800002
	v_rcp_f32_e32 v48, v48                                     // 00000001519C: 7E604530
	s_nop 1                                                    // 0000000151A0: BF800001
	v_mul_f32_e32 v48, 0x43e00000, v48                         // 0000000151A4: 0A6060FF 43E00000
	v_mul_f32_e32 v112, v48, v240                              // 0000000151AC: 0AE1E130
	v_mul_f32_e32 v113, v48, v241                              // 0000000151B0: 0AE3E330
	v_mul_f32_e32 v114, v48, v242                              // 0000000151B4: 0AE5E530
	v_mul_f32_e32 v115, v48, v243                              // 0000000151B8: 0AE7E730
	v_mul_f32_e32 v116, v48, v244                              // 0000000151BC: 0AE9E930
	v_mul_f32_e32 v117, v48, v245                              // 0000000151C0: 0AEBEB30
	v_mul_f32_e32 v118, v48, v246                              // 0000000151C4: 0AEDED30
	v_mul_f32_e32 v119, v48, v247                              // 0000000151C8: 0AEFEF30
	v_mul_f32_e32 v120, v48, v248                              // 0000000151CC: 0AF1F130
	v_mul_f32_e32 v121, v48, v249                              // 0000000151D0: 0AF3F330
	v_mul_f32_e32 v122, v48, v250                              // 0000000151D4: 0AF5F530
	v_mul_f32_e32 v123, v48, v251                              // 0000000151D8: 0AF7F730
	v_mul_f32_e32 v124, v48, v252                              // 0000000151DC: 0AF9F930
	v_mul_f32_e32 v125, v48, v253                              // 0000000151E0: 0AFBFB30
	v_mul_f32_e32 v126, v48, v254                              // 0000000151E4: 0AFDFD30
	v_mul_f32_e32 v127, v48, v255                              // 0000000151E8: 0AFFFF30
	v_cvt_pk_fp8_f32 v112, v112, v113                          // 0000000151EC: D2A20070 0002E370
	v_cvt_pk_fp8_f32 v112, v114, v115 op_sel:[0,0,1]           // 0000000151F4: D2A24070 0002E772
	v_cvt_pk_fp8_f32 v113, v116, v117                          // 0000000151FC: D2A20071 0002EB74
	v_cvt_pk_fp8_f32 v113, v118, v119 op_sel:[0,0,1]           // 000000015204: D2A24071 0002EF76
	v_cvt_pk_fp8_f32 v114, v120, v121                          // 00000001520C: D2A20072 0002F378
	v_cvt_pk_fp8_f32 v114, v122, v123 op_sel:[0,0,1]           // 000000015214: D2A24072 0002F77A
	v_cvt_pk_fp8_f32 v115, v124, v125                          // 00000001521C: D2A20073 0002FB7C
	v_cvt_pk_fp8_f32 v115, v126, v127 op_sel:[0,0,1]           // 000000015224: D2A24073 0002FF7E
	ds_write_b32 v10, v112 offset:25088                        // 00000001522C: D81A6200 0000700A
	ds_write_b32 v10, v113 offset:26112                        // 000000015234: D81A6600 0000710A
	ds_write_b32 v10, v114 offset:27136                        // 00000001523C: D81A6A00 0000720A
	ds_write_b32 v10, v115 offset:28160                        // 000000015244: D81A6E00 0000730A
	v_add_f32_e32 v208, v208, v176                             // 00000001524C: 03A161D0
	v_add_f32_e32 v209, v209, v177                             // 000000015250: 03A363D1
	v_add_f32_e32 v210, v210, v178                             // 000000015254: 03A565D2
	v_add_f32_e32 v211, v211, v179                             // 000000015258: 03A767D3
	v_add_f32_e32 v212, v212, v180                             // 00000001525C: 03A969D4
	v_add_f32_e32 v213, v213, v181                             // 000000015260: 03AB6BD5
	v_add_f32_e32 v214, v214, v182                             // 000000015264: 03AD6DD6
	v_add_f32_e32 v215, v215, v183                             // 000000015268: 03AF6FD7
	v_rcp_f32_e32 v44, v48                                     // 00000001526C: 7E584530
	s_waitcnt lgkmcnt(0)                                       // 000000015270: BF8CC07F
	s_barrier                                                  // 000000015274: BF8A0000
	ds_read_b64 v[112:113], v9 offset:25088                    // 000000015278: D8EC6200 70000009
	ds_read_b64 v[114:115], v9 offset:25216                    // 000000015280: D8EC6280 72000009
	ds_read_b64 v[116:117], v9 offset:26112                    // 000000015288: D8EC6600 74000009
	ds_read_b64 v[118:119], v9 offset:26240                    // 000000015290: D8EC6680 76000009
	ds_read_b64 v[120:121], v9 offset:27136                    // 000000015298: D8EC6A00 78000009
	ds_read_b64 v[122:123], v9 offset:27264                    // 0000000152A0: D8EC6A80 7A000009
	ds_read_b64 v[124:125], v9 offset:28160                    // 0000000152A8: D8EC6E00 7C000009
	ds_read_b64 v[126:127], v9 offset:28288                    // 0000000152B0: D8EC6E80 7E000009
	v_mov_b32_dpp v64, v42 row_shr:4 row_mask:0xf bank_mask:0xf// 0000000152B8: 7E8002FA FF01142A
	v_mov_b32_dpp v65, v42 row_shl:4 row_mask:0xf bank_mask:0xf// 0000000152C0: 7E8202FA FF01042A
	v_cndmask_b32_e64 v248, v42, v64, s[44:45]                 // 0000000152C8: D10000F8 00B2812A
	v_cndmask_b32_e64 v249, v65, v42, s[44:45]                 // 0000000152D0: D10000F9 00B25541
	v_mov_b32_dpp v64, v248 row_shr:8 row_mask:0xf bank_mask:0xf// 0000000152D8: 7E8002FA FF0118F8
	v_mov_b32_dpp v65, v248 row_shl:8 row_mask:0xf bank_mask:0xf// 0000000152E0: 7E8202FA FF0108F8
	v_mov_b32_dpp v66, v249 row_shr:8 row_mask:0xf bank_mask:0xf// 0000000152E8: 7E8402FA FF0118F9
	v_mov_b32_dpp v67, v249 row_shl:8 row_mask:0xf bank_mask:0xf// 0000000152F0: 7E8602FA FF0108F9
	v_mov_b32_e32 v68, v248                                    // 0000000152F8: 7E8803F8
	v_mov_b32_e32 v69, v249                                    // 0000000152FC: 7E8A03F9
	v_cndmask_b32_e64 v248, v68, v64, s[42:43]                 // 000000015300: D10000F8 00AA8144
	v_cndmask_b32_e64 v250, v68, v65, s[78:79]                 // 000000015308: D10000FA 013A8344
	v_cndmask_b32_e64 v249, v69, v66, s[42:43]                 // 000000015310: D10000F9 00AA8545
	v_cndmask_b32_e64 v251, v69, v67, s[78:79]                 // 000000015318: D10000FB 013A8745
	v_mov_b32_dpp v64, v57 row_shr:4 row_mask:0xf bank_mask:0xf// 000000015320: 7E8002FA FF011439
	v_mov_b32_dpp v65, v57 row_shl:4 row_mask:0xf bank_mask:0xf// 000000015328: 7E8202FA FF010439
	v_cndmask_b32_e64 v252, v57, v64, s[44:45]                 // 000000015330: D10000FC 00B28139
	v_cndmask_b32_e64 v253, v65, v57, s[44:45]                 // 000000015338: D10000FD 00B27341
	v_mov_b32_dpp v64, v252 row_shr:8 row_mask:0xf bank_mask:0xf// 000000015340: 7E8002FA FF0118FC
	v_mov_b32_dpp v65, v252 row_shl:8 row_mask:0xf bank_mask:0xf// 000000015348: 7E8202FA FF0108FC
	v_mov_b32_dpp v66, v253 row_shr:8 row_mask:0xf bank_mask:0xf// 000000015350: 7E8402FA FF0118FD
	v_mov_b32_dpp v67, v253 row_shl:8 row_mask:0xf bank_mask:0xf// 000000015358: 7E8602FA FF0108FD
	v_mov_b32_e32 v68, v252                                    // 000000015360: 7E8803FC
	v_mov_b32_e32 v69, v253                                    // 000000015364: 7E8A03FD
	v_cndmask_b32_e64 v252, v68, v64, s[42:43]                 // 000000015368: D10000FC 00AA8144
	v_cndmask_b32_e64 v254, v68, v65, s[78:79]                 // 000000015370: D10000FE 013A8344
	v_cndmask_b32_e64 v253, v69, v66, s[42:43]                 // 000000015378: D10000FD 00AA8545
	v_cndmask_b32_e64 v255, v69, v67, s[78:79]                 // 000000015380: D10000FF 013A8745
	v_mul_f32_e32 v128, v19, v128                              // 000000015388: 0B010113
	v_mul_f32_e32 v129, v19, v129                              // 00000001538C: 0B030313
	v_mul_f32_e32 v130, v19, v130                              // 000000015390: 0B050513
	v_mul_f32_e32 v131, v19, v131                              // 000000015394: 0B070713
	v_mul_f32_e32 v132, v19, v132                              // 000000015398: 0B090913
	v_mul_f32_e32 v133, v19, v133                              // 00000001539C: 0B0B0B13
	v_mul_f32_e32 v134, v19, v134                              // 0000000153A0: 0B0D0D13
	v_mul_f32_e32 v135, v19, v135                              // 0000000153A4: 0B0F0F13
	v_mul_f32_e32 v136, v19, v136                              // 0000000153A8: 0B111113
	v_mul_f32_e32 v137, v19, v137                              // 0000000153AC: 0B131313
	v_mul_f32_e32 v138, v19, v138                              // 0000000153B0: 0B151513
	v_mul_f32_e32 v139, v19, v139                              // 0000000153B4: 0B171713
	v_mul_f32_e32 v140, v19, v140                              // 0000000153B8: 0B191913
	v_mul_f32_e32 v141, v19, v141                              // 0000000153BC: 0B1B1B13
	v_mul_f32_e32 v142, v19, v142                              // 0000000153C0: 0B1D1D13
	v_mul_f32_e32 v143, v19, v143                              // 0000000153C4: 0B1F1F13
	v_mul_f32_dpp v128, v248, v128 quad_perm:[0,0,0,0] row_mask:0xf bank_mask:0xf// 0000000153C8: 0B0100FA FF0000F8
	v_mul_f32_dpp v129, v248, v129 quad_perm:[1,1,1,1] row_mask:0xf bank_mask:0xf// 0000000153D0: 0B0302FA FF0055F8
	v_mul_f32_dpp v130, v248, v130 quad_perm:[2,2,2,2] row_mask:0xf bank_mask:0xf// 0000000153D8: 0B0504FA FF00AAF8
	v_mul_f32_dpp v131, v248, v131 quad_perm:[3,3,3,3] row_mask:0xf bank_mask:0xf// 0000000153E0: 0B0706FA FF00FFF8
	v_mul_f32_dpp v132, v249, v132 quad_perm:[0,0,0,0] row_mask:0xf bank_mask:0xf// 0000000153E8: 0B0908FA FF0000F9
	v_mul_f32_dpp v133, v249, v133 quad_perm:[1,1,1,1] row_mask:0xf bank_mask:0xf// 0000000153F0: 0B0B0AFA FF0055F9
	v_mul_f32_dpp v134, v249, v134 quad_perm:[2,2,2,2] row_mask:0xf bank_mask:0xf// 0000000153F8: 0B0D0CFA FF00AAF9
	v_mul_f32_dpp v135, v249, v135 quad_perm:[3,3,3,3] row_mask:0xf bank_mask:0xf// 000000015400: 0B0F0EFA FF00FFF9
	v_mul_f32_dpp v136, v250, v136 quad_perm:[0,0,0,0] row_mask:0xf bank_mask:0xf// 000000015408: 0B1110FA FF0000FA
	v_mul_f32_dpp v137, v250, v137 quad_perm:[1,1,1,1] row_mask:0xf bank_mask:0xf// 000000015410: 0B1312FA FF0055FA
	v_mul_f32_dpp v138, v250, v138 quad_perm:[2,2,2,2] row_mask:0xf bank_mask:0xf// 000000015418: 0B1514FA FF00AAFA
	v_mul_f32_dpp v139, v250, v139 quad_perm:[3,3,3,3] row_mask:0xf bank_mask:0xf// 000000015420: 0B1716FA FF00FFFA
	v_mul_f32_dpp v140, v251, v140 quad_perm:[0,0,0,0] row_mask:0xf bank_mask:0xf// 000000015428: 0B1918FA FF0000FB
	v_mul_f32_dpp v141, v251, v141 quad_perm:[1,1,1,1] row_mask:0xf bank_mask:0xf// 000000015430: 0B1B1AFA FF0055FB
	v_mul_f32_dpp v142, v251, v142 quad_perm:[2,2,2,2] row_mask:0xf bank_mask:0xf// 000000015438: 0B1D1CFA FF00AAFB
	v_mul_f32_dpp v143, v251, v143 quad_perm:[3,3,3,3] row_mask:0xf bank_mask:0xf// 000000015440: 0B1F1EFA FF00FFFB
	s_cmp_le_i32 s90, s89                                      // 000000015448: BF05595A
	s_cbranch_scc1 label_4D05                                  // 00000001544C: BF850071
	v_mov_b32_e32 v66, 0xff800000                              // 000000015450: 7E8402FF FF800000
	s_mov_b32 s60, s90                                         // 000000015458: BEBC005A
	s_add_u32 s61, s89, 0xff                                   // 00000001545C: 803DFF59 000000FF
	v_mov_b32_e32 v64, s61                                     // 000000015464: 7E80023D
	v_lshrrev_b32_e32 v240, 4, v0                              // 000000015468: 21E00084
	v_mul_i32_i24_e32 v240, 4, v240                            // 00000001546C: 0DE1E084
	v_add_u32_e32 v240, s60, v240                              // 000000015470: 69E1E03C
	s_mov_b32 s61, 1                                           // 000000015474: BEBD0081
	s_mul_i32 s60, 16, s7                                      // 000000015478: 923C0790
	v_sub_u32_e64 v240, v240, s61                              // 00000001547C: D13500F0 00007BF0
	v_add_u32_e32 v240, s60, v240                              // 000000015484: 69E1E03C
	v_add_u32_e32 v241, 1, v240                                // 000000015488: 69E3E081
	v_add_u32_e32 v242, 2, v240                                // 00000001548C: 69E5E082
	v_add_u32_e32 v243, 3, v240                                // 000000015490: 69E7E083
	v_cmp_le_u32_e64 s[40:41], v240, v64                       // 000000015494: D0CB0028 000281F0
	v_add_u32_e32 v240, 64, v240                               // 00000001549C: 69E1E0C0
	s_nop 0                                                    // 0000000154A0: BF800000
	v_cndmask_b32_e64 v128, v66, v128, s[40:41]                // 0000000154A4: D1000080 00A30142
	v_cmp_le_u32_e64 s[40:41], v241, v64                       // 0000000154AC: D0CB0028 000281F1
	v_add_u32_e32 v241, 64, v241                               // 0000000154B4: 69E3E2C0
	s_nop 0                                                    // 0000000154B8: BF800000
	v_cndmask_b32_e64 v129, v66, v129, s[40:41]                // 0000000154BC: D1000081 00A30342
	v_cmp_le_u32_e64 s[40:41], v242, v64                       // 0000000154C4: D0CB0028 000281F2
	v_add_u32_e32 v242, 64, v242                               // 0000000154CC: 69E5E4C0
	s_nop 0                                                    // 0000000154D0: BF800000
	v_cndmask_b32_e64 v130, v66, v130, s[40:41]                // 0000000154D4: D1000082 00A30542
	v_cmp_le_u32_e64 s[40:41], v243, v64                       // 0000000154DC: D0CB0028 000281F3
	v_add_u32_e32 v243, 64, v243                               // 0000000154E4: 69E7E6C0
	s_nop 0                                                    // 0000000154E8: BF800000
	v_cndmask_b32_e64 v131, v66, v131, s[40:41]                // 0000000154EC: D1000083 00A30742
	v_cmp_le_u32_e64 s[40:41], v240, v64                       // 0000000154F4: D0CB0028 000281F0
	v_add_u32_e32 v240, 64, v240                               // 0000000154FC: 69E1E0C0
	s_nop 0                                                    // 000000015500: BF800000
	v_cndmask_b32_e64 v132, v66, v132, s[40:41]                // 000000015504: D1000084 00A30942
	v_cmp_le_u32_e64 s[40:41], v241, v64                       // 00000001550C: D0CB0028 000281F1
	v_add_u32_e32 v241, 64, v241                               // 000000015514: 69E3E2C0
	s_nop 0                                                    // 000000015518: BF800000
	v_cndmask_b32_e64 v133, v66, v133, s[40:41]                // 00000001551C: D1000085 00A30B42
	v_cmp_le_u32_e64 s[40:41], v242, v64                       // 000000015524: D0CB0028 000281F2
	v_add_u32_e32 v242, 64, v242                               // 00000001552C: 69E5E4C0
	s_nop 0                                                    // 000000015530: BF800000
	v_cndmask_b32_e64 v134, v66, v134, s[40:41]                // 000000015534: D1000086 00A30D42
	v_cmp_le_u32_e64 s[40:41], v243, v64                       // 00000001553C: D0CB0028 000281F3
	v_add_u32_e32 v243, 64, v243                               // 000000015544: 69E7E6C0
	s_nop 0                                                    // 000000015548: BF800000
	v_cndmask_b32_e64 v135, v66, v135, s[40:41]                // 00000001554C: D1000087 00A30F42
	v_cmp_le_u32_e64 s[40:41], v240, v64                       // 000000015554: D0CB0028 000281F0
	v_add_u32_e32 v240, 64, v240                               // 00000001555C: 69E1E0C0
	s_nop 0                                                    // 000000015560: BF800000
	v_cndmask_b32_e64 v136, v66, v136, s[40:41]                // 000000015564: D1000088 00A31142
	v_cmp_le_u32_e64 s[40:41], v241, v64                       // 00000001556C: D0CB0028 000281F1
	v_add_u32_e32 v241, 64, v241                               // 000000015574: 69E3E2C0
	s_nop 0                                                    // 000000015578: BF800000
	v_cndmask_b32_e64 v137, v66, v137, s[40:41]                // 00000001557C: D1000089 00A31342
	v_cmp_le_u32_e64 s[40:41], v242, v64                       // 000000015584: D0CB0028 000281F2
	v_add_u32_e32 v242, 64, v242                               // 00000001558C: 69E5E4C0
	s_nop 0                                                    // 000000015590: BF800000
	v_cndmask_b32_e64 v138, v66, v138, s[40:41]                // 000000015594: D100008A 00A31542
	v_cmp_le_u32_e64 s[40:41], v243, v64                       // 00000001559C: D0CB0028 000281F3
	v_add_u32_e32 v243, 64, v243                               // 0000000155A4: 69E7E6C0
	s_nop 0                                                    // 0000000155A8: BF800000
	v_cndmask_b32_e64 v139, v66, v139, s[40:41]                // 0000000155AC: D100008B 00A31742
	v_cmp_le_u32_e64 s[40:41], v240, v64                       // 0000000155B4: D0CB0028 000281F0
	v_add_u32_e32 v240, 64, v240                               // 0000000155BC: 69E1E0C0
	s_nop 0                                                    // 0000000155C0: BF800000
	v_cndmask_b32_e64 v140, v66, v140, s[40:41]                // 0000000155C4: D100008C 00A31942
	v_cmp_le_u32_e64 s[40:41], v241, v64                       // 0000000155CC: D0CB0028 000281F1
	v_add_u32_e32 v241, 64, v241                               // 0000000155D4: 69E3E2C0
	s_nop 0                                                    // 0000000155D8: BF800000
	v_cndmask_b32_e64 v141, v66, v141, s[40:41]                // 0000000155DC: D100008D 00A31B42
	v_cmp_le_u32_e64 s[40:41], v242, v64                       // 0000000155E4: D0CB0028 000281F2
	v_add_u32_e32 v242, 64, v242                               // 0000000155EC: 69E5E4C0
	s_nop 0                                                    // 0000000155F0: BF800000
	v_cndmask_b32_e64 v142, v66, v142, s[40:41]                // 0000000155F4: D100008E 00A31D42
	v_cmp_le_u32_e64 s[40:41], v243, v64                       // 0000000155FC: D0CB0028 000281F3
	v_add_u32_e32 v243, 64, v243                               // 000000015604: 69E7E6C0
	s_nop 0                                                    // 000000015608: BF800000
	v_cndmask_b32_e64 v143, v66, v143, s[40:41]                // 00000001560C: D100008F 00A31F42

0000000000015614 <label_4D05>:
	v_mov_b32_e32 v48, v128                                    // 000000015614: 7E600380
	v_max3_f32 v48, v128, v129, v48                            // 000000015618: D1D30030 04C30380
	v_max3_f32 v48, v130, v131, v48                            // 000000015620: D1D30030 04C30782
	v_max3_f32 v48, v132, v133, v48                            // 000000015628: D1D30030 04C30B84
	v_max3_f32 v48, v134, v135, v48                            // 000000015630: D1D30030 04C30F86
	v_max3_f32 v48, v136, v137, v48                            // 000000015638: D1D30030 04C31388
	v_max3_f32 v48, v138, v139, v48                            // 000000015640: D1D30030 04C3178A
	v_max3_f32 v48, v140, v141, v48                            // 000000015648: D1D30030 04C31B8C
	v_max3_f32 v48, v142, v143, v48                            // 000000015650: D1D30030 04C31F8E
	ds_write_b32 v8, v48 offset:16896                          // 000000015658: D81A4200 00003008
	v_mul_f32_e32 v216, v50, v216                              // 000000015660: 0BB1B132
	v_mul_f32_e32 v217, v50, v217                              // 000000015664: 0BB3B332
	v_mul_f32_e32 v218, v50, v218                              // 000000015668: 0BB5B532
	v_mul_f32_e32 v219, v50, v219                              // 00000001566C: 0BB7B732
	v_mul_f32_e32 v220, v50, v220                              // 000000015670: 0BB9B932
	v_mul_f32_e32 v221, v50, v221                              // 000000015674: 0BBBBB32
	v_mul_f32_e32 v222, v50, v222                              // 000000015678: 0BBDBD32
	v_mul_f32_e32 v223, v50, v223                              // 00000001567C: 0BBFBF32
	s_waitcnt lgkmcnt(0)                                       // 000000015680: BF8CC07F
	s_barrier                                                  // 000000015684: BF8A0000
	ds_read_b32 v64, v7 offset:16896                           // 000000015688: D86C4200 40000007
	ds_read_b32 v65, v7 offset:16960                           // 000000015690: D86C4240 41000007
	ds_read_b32 v66, v7 offset:17024                           // 000000015698: D86C4280 42000007
	ds_read_b32 v67, v7 offset:17088                           // 0000000156A0: D86C42C0 43000007
	ds_read_b32 v68, v7 offset:17152                           // 0000000156A8: D86C4300 44000007
	ds_read_b32 v69, v7 offset:17216                           // 0000000156B0: D86C4340 45000007
	ds_read_b32 v70, v7 offset:17280                           // 0000000156B8: D86C4380 46000007
	ds_read_b32 v71, v7 offset:17344                           // 0000000156C0: D86C43C0 47000007
	ds_read_b32 v72, v7 offset:17408                           // 0000000156C8: D86C4400 48000007
	ds_read_b32 v73, v7 offset:17472                           // 0000000156D0: D86C4440 49000007
	ds_read_b32 v74, v7 offset:17536                           // 0000000156D8: D86C4480 4A000007
	ds_read_b32 v75, v7 offset:17600                           // 0000000156E0: D86C44C0 4B000007
	ds_read_b32 v76, v7 offset:17664                           // 0000000156E8: D86C4500 4C000007
	ds_read_b32 v77, v7 offset:17728                           // 0000000156F0: D86C4540 4D000007
	ds_read_b32 v78, v7 offset:17792                           // 0000000156F8: D86C4580 4E000007
	ds_read_b32 v79, v7 offset:17856                           // 000000015700: D86C45C0 4F000007
	v_mul_f32_e32 v184, v45, v184                              // 000000015708: 0B71712D
	v_mul_f32_e32 v185, v45, v185                              // 00000001570C: 0B73732D
	v_mul_f32_e32 v186, v45, v186                              // 000000015710: 0B75752D
	v_mul_f32_e32 v187, v45, v187                              // 000000015714: 0B77772D
	v_mul_f32_e32 v188, v45, v188                              // 000000015718: 0B79792D
	v_mul_f32_e32 v189, v45, v189                              // 00000001571C: 0B7B7B2D
	v_mul_f32_e32 v190, v45, v190                              // 000000015720: 0B7D7D2D
	v_mul_f32_e32 v191, v45, v191                              // 000000015724: 0B7F7F2D
	s_waitcnt lgkmcnt(0)                                       // 000000015728: BF8CC07F
	v_max3_f32 v48, v64, v65, v48                              // 00000001572C: D1D30030 04C28340
	v_max3_f32 v48, v66, v67, v48                              // 000000015734: D1D30030 04C28742
	v_max3_f32 v48, v68, v69, v48                              // 00000001573C: D1D30030 04C28B44
	v_max3_f32 v48, v70, v71, v48                              // 000000015744: D1D30030 04C28F46
	v_max3_f32 v48, v72, v73, v48                              // 00000001574C: D1D30030 04C29348
	v_max3_f32 v48, v74, v75, v48                              // 000000015754: D1D30030 04C2974A
	v_max3_f32 v48, v76, v77, v48                              // 00000001575C: D1D30030 04C29B4C
	v_max3_f32 v48, v78, v79, v48                              // 000000015764: D1D30030 04C29F4E
	v_mov_b32_e32 v64, 0xff800000                              // 00000001576C: 7E8002FF FF800000
	v_cmp_eq_u32_e64 s[40:41], v64, v12                        // 000000015774: D0CA0028 00021940
	s_nop 1                                                    // 00000001577C: BF800001
	v_max_f32_e32 v15, v48, v12                                // 000000015780: 161E1930
	v_mul_f32_e32 v53, s64, v15                                // 000000015784: 0A6A1E40
	v_fma_f32 v128, v128, s64, -v53                            // 000000015788: D1CB0080 84D48180
	v_fma_f32 v129, v129, s64, -v53                            // 000000015790: D1CB0081 84D48181
	v_fma_f32 v130, v130, s64, -v53                            // 000000015798: D1CB0082 84D48182
	v_fma_f32 v131, v131, s64, -v53                            // 0000000157A0: D1CB0083 84D48183
	v_fma_f32 v132, v132, s64, -v53                            // 0000000157A8: D1CB0084 84D48184
	v_fma_f32 v133, v133, s64, -v53                            // 0000000157B0: D1CB0085 84D48185
	v_fma_f32 v134, v134, s64, -v53                            // 0000000157B8: D1CB0086 84D48186
	v_fma_f32 v135, v135, s64, -v53                            // 0000000157C0: D1CB0087 84D48187
	v_fma_f32 v136, v136, s64, -v53                            // 0000000157C8: D1CB0088 84D48188
	v_fma_f32 v137, v137, s64, -v53                            // 0000000157D0: D1CB0089 84D48189
	v_fma_f32 v138, v138, s64, -v53                            // 0000000157D8: D1CB008A 84D4818A
	v_fma_f32 v139, v139, s64, -v53                            // 0000000157E0: D1CB008B 84D4818B
	v_fma_f32 v140, v140, s64, -v53                            // 0000000157E8: D1CB008C 84D4818C
	v_fma_f32 v141, v141, s64, -v53                            // 0000000157F0: D1CB008D 84D4818D
	v_fma_f32 v142, v142, s64, -v53                            // 0000000157F8: D1CB008E 84D4818E
	v_fma_f32 v143, v143, s64, -v53                            // 000000015800: D1CB008F 84D4818F
	v_exp_f32_e32 v128, v128                                   // 000000015808: 7F004180
	v_exp_f32_e32 v129, v129                                   // 00000001580C: 7F024181
	v_exp_f32_e32 v130, v130                                   // 000000015810: 7F044182
	v_exp_f32_e32 v131, v131                                   // 000000015814: 7F064183
	v_exp_f32_e32 v132, v132                                   // 000000015818: 7F084184
	v_exp_f32_e32 v133, v133                                   // 00000001581C: 7F0A4185
	v_exp_f32_e32 v134, v134                                   // 000000015820: 7F0C4186
	v_exp_f32_e32 v135, v135                                   // 000000015824: 7F0E4187
	v_exp_f32_e32 v136, v136                                   // 000000015828: 7F104188
	v_exp_f32_e32 v137, v137                                   // 00000001582C: 7F124189
	v_exp_f32_e32 v138, v138                                   // 000000015830: 7F14418A
	v_exp_f32_e32 v139, v139                                   // 000000015834: 7F16418B
	v_exp_f32_e32 v140, v140                                   // 000000015838: 7F18418C
	v_exp_f32_e32 v141, v141                                   // 00000001583C: 7F1A418D
	v_exp_f32_e32 v142, v142                                   // 000000015840: 7F1C418E
	v_exp_f32_e32 v143, v143                                   // 000000015844: 7F1E418F
	v_mul_f32_dpp v240, v252, v128 quad_perm:[0,0,0,0] row_mask:0xf bank_mask:0xf// 000000015848: 0BE100FA FF0000FC
	v_mul_f32_dpp v241, v252, v129 quad_perm:[1,1,1,1] row_mask:0xf bank_mask:0xf// 000000015850: 0BE302FA FF0055FC
	v_mul_f32_dpp v242, v252, v130 quad_perm:[2,2,2,2] row_mask:0xf bank_mask:0xf// 000000015858: 0BE504FA FF00AAFC
	v_mul_f32_dpp v243, v252, v131 quad_perm:[3,3,3,3] row_mask:0xf bank_mask:0xf// 000000015860: 0BE706FA FF00FFFC
	v_mul_f32_dpp v244, v253, v132 quad_perm:[0,0,0,0] row_mask:0xf bank_mask:0xf// 000000015868: 0BE908FA FF0000FD
	v_mul_f32_dpp v245, v253, v133 quad_perm:[1,1,1,1] row_mask:0xf bank_mask:0xf// 000000015870: 0BEB0AFA FF0055FD
	v_mul_f32_dpp v246, v253, v134 quad_perm:[2,2,2,2] row_mask:0xf bank_mask:0xf// 000000015878: 0BED0CFA FF00AAFD
	v_mul_f32_dpp v247, v253, v135 quad_perm:[3,3,3,3] row_mask:0xf bank_mask:0xf// 000000015880: 0BEF0EFA FF00FFFD
	v_mul_f32_dpp v248, v254, v136 quad_perm:[0,0,0,0] row_mask:0xf bank_mask:0xf// 000000015888: 0BF110FA FF0000FE
	v_mul_f32_dpp v249, v254, v137 quad_perm:[1,1,1,1] row_mask:0xf bank_mask:0xf// 000000015890: 0BF312FA FF0055FE
	v_mul_f32_dpp v250, v254, v138 quad_perm:[2,2,2,2] row_mask:0xf bank_mask:0xf// 000000015898: 0BF514FA FF00AAFE
	v_mul_f32_dpp v251, v254, v139 quad_perm:[3,3,3,3] row_mask:0xf bank_mask:0xf// 0000000158A0: 0BF716FA FF00FFFE
	v_mul_f32_dpp v252, v255, v140 quad_perm:[0,0,0,0] row_mask:0xf bank_mask:0xf// 0000000158A8: 0BF918FA FF0000FF
	v_mul_f32_dpp v253, v255, v141 quad_perm:[1,1,1,1] row_mask:0xf bank_mask:0xf// 0000000158B0: 0BFB1AFA FF0055FF
	v_mul_f32_dpp v254, v255, v142 quad_perm:[2,2,2,2] row_mask:0xf bank_mask:0xf// 0000000158B8: 0BFD1CFA FF00AAFF
	v_mul_f32_dpp v255, v255, v143 quad_perm:[3,3,3,3] row_mask:0xf bank_mask:0xf// 0000000158C0: 0BFF1EFA FF00FFFF
	v_mov_b32_e32 v48, 0x358637bd                              // 0000000158C8: 7E6002FF 358637BD
	v_max3_f32 v48, |v240|, |v241|, v48                        // 0000000158D0: D1D30330 04C3E3F0
	v_max3_f32 v48, |v242|, |v243|, v48                        // 0000000158D8: D1D30330 04C3E7F2
	v_max3_f32 v48, |v244|, |v245|, v48                        // 0000000158E0: D1D30330 04C3EBF4
	v_max3_f32 v48, |v246|, |v247|, v48                        // 0000000158E8: D1D30330 04C3EFF6
	v_max3_f32 v48, |v248|, |v249|, v48                        // 0000000158F0: D1D30330 04C3F3F8
	v_max3_f32 v48, |v250|, |v251|, v48                        // 0000000158F8: D1D30330 04C3F7FA
	v_max3_f32 v48, |v252|, |v253|, v48                        // 000000015900: D1D30330 04C3FBFC
	v_max3_f32 v48, |v254|, |v255|, v48                        // 000000015908: D1D30330 04C3FFFE
	ds_write_b32 v8, v48 offset:20992                          // 000000015910: D81A5200 00003008
	v_sub_f32_e32 v50, v12, v15                                // 000000015918: 04641F0C
	v_cndmask_b32_e64 v50, v50, 0, s[40:41]                    // 00000001591C: D1000032 00A10132
	v_mov_b32_e32 v12, v15                                     // 000000015924: 7E18030F
	v_mul_f32_e32 v50, s64, v50                                // 000000015928: 0A646440
	v_exp_f32_e32 v50, v50                                     // 00000001592C: 7E644132
	s_waitcnt lgkmcnt(0)                                       // 000000015930: BF8CC07F
	s_barrier                                                  // 000000015934: BF8A0000
	ds_read_b32 v64, v7 offset:20992                           // 000000015938: D86C5200 40000007
	ds_read_b32 v65, v7 offset:21056                           // 000000015940: D86C5240 41000007
	ds_read_b32 v66, v7 offset:21120                           // 000000015948: D86C5280 42000007
	ds_read_b32 v67, v7 offset:21184                           // 000000015950: D86C52C0 43000007
	ds_read_b32 v68, v7 offset:21248                           // 000000015958: D86C5300 44000007
	ds_read_b32 v69, v7 offset:21312                           // 000000015960: D86C5340 45000007
	ds_read_b32 v70, v7 offset:21376                           // 000000015968: D86C5380 46000007
	ds_read_b32 v71, v7 offset:21440                           // 000000015970: D86C53C0 47000007
	ds_read_b32 v72, v7 offset:21504                           // 000000015978: D86C5400 48000007
	ds_read_b32 v73, v7 offset:21568                           // 000000015980: D86C5440 49000007
	ds_read_b32 v74, v7 offset:21632                           // 000000015988: D86C5480 4A000007
	ds_read_b32 v75, v7 offset:21696                           // 000000015990: D86C54C0 4B000007
	ds_read_b32 v76, v7 offset:21760                           // 000000015998: D86C5500 4C000007
	ds_read_b32 v77, v7 offset:21824                           // 0000000159A0: D86C5540 4D000007
	ds_read_b32 v78, v7 offset:21888                           // 0000000159A8: D86C5580 4E000007
	ds_read_b32 v79, v7 offset:21952                           // 0000000159B0: D86C55C0 4F000007
	v_mul_f32_e32 v39, v50, v39                                // 0000000159B8: 0A4E4F32
	v_mov_b32_e32 v15, v128                                    // 0000000159BC: 7E1E0380
	v_add_f32_e32 v15, v129, v15                               // 0000000159C0: 021E1F81
	v_add_f32_e32 v15, v130, v15                               // 0000000159C4: 021E1F82
	v_add_f32_e32 v15, v131, v15                               // 0000000159C8: 021E1F83
	v_add_f32_e32 v15, v132, v15                               // 0000000159CC: 021E1F84
	v_add_f32_e32 v15, v133, v15                               // 0000000159D0: 021E1F85
	v_add_f32_e32 v15, v134, v15                               // 0000000159D4: 021E1F86
	v_add_f32_e32 v15, v135, v15                               // 0000000159D8: 021E1F87
	v_add_f32_e32 v15, v136, v15                               // 0000000159DC: 021E1F88
	v_add_f32_e32 v15, v137, v15                               // 0000000159E0: 021E1F89
	v_add_f32_e32 v15, v138, v15                               // 0000000159E4: 021E1F8A
	v_add_f32_e32 v15, v139, v15                               // 0000000159E8: 021E1F8B
	v_add_f32_e32 v15, v140, v15                               // 0000000159EC: 021E1F8C
	v_add_f32_e32 v15, v141, v15                               // 0000000159F0: 021E1F8D
	v_add_f32_e32 v15, v142, v15                               // 0000000159F4: 021E1F8E
	v_add_f32_e32 v15, v143, v15                               // 0000000159F8: 021E1F8F
	v_add_f32_e32 v39, v15, v39                                // 0000000159FC: 024E4F0F
	s_waitcnt lgkmcnt(0)                                       // 000000015A00: BF8CC07F
	v_max3_f32 v48, |v64|, |v65|, v48                          // 000000015A04: D1D30330 04C28340
	v_max3_f32 v48, |v66|, |v67|, v48                          // 000000015A0C: D1D30330 04C28742
	v_max3_f32 v48, |v68|, |v69|, v48                          // 000000015A14: D1D30330 04C28B44
	v_max3_f32 v48, |v70|, |v71|, v48                          // 000000015A1C: D1D30330 04C28F46
	v_max3_f32 v48, |v72|, |v73|, v48                          // 000000015A24: D1D30330 04C29348
	v_max3_f32 v48, |v74|, |v75|, v48                          // 000000015A2C: D1D30330 04C2974A
	v_max3_f32 v48, |v76|, |v77|, v48                          // 000000015A34: D1D30330 04C29B4C
	v_max3_f32 v48, |v78|, |v79|, v48                          // 000000015A3C: D1D30330 04C29F4E
	s_nop 2                                                    // 000000015A44: BF800002
	v_rcp_f32_e32 v48, v48                                     // 000000015A48: 7E604530
	s_nop 1                                                    // 000000015A4C: BF800001
	v_mul_f32_e32 v48, 0x43e00000, v48                         // 000000015A50: 0A6060FF 43E00000
	v_mul_f32_e32 v128, v48, v240                              // 000000015A58: 0B01E130
	v_mul_f32_e32 v129, v48, v241                              // 000000015A5C: 0B03E330
	v_mul_f32_e32 v130, v48, v242                              // 000000015A60: 0B05E530
	v_mul_f32_e32 v131, v48, v243                              // 000000015A64: 0B07E730
	v_mul_f32_e32 v132, v48, v244                              // 000000015A68: 0B09E930
	v_mul_f32_e32 v133, v48, v245                              // 000000015A6C: 0B0BEB30
	v_mul_f32_e32 v134, v48, v246                              // 000000015A70: 0B0DED30
	v_mul_f32_e32 v135, v48, v247                              // 000000015A74: 0B0FEF30
	v_mul_f32_e32 v136, v48, v248                              // 000000015A78: 0B11F130
	v_mul_f32_e32 v137, v48, v249                              // 000000015A7C: 0B13F330
	v_mul_f32_e32 v138, v48, v250                              // 000000015A80: 0B15F530
	v_mul_f32_e32 v139, v48, v251                              // 000000015A84: 0B17F730
	v_mul_f32_e32 v140, v48, v252                              // 000000015A88: 0B19F930
	v_mul_f32_e32 v141, v48, v253                              // 000000015A8C: 0B1BFB30
	v_mul_f32_e32 v142, v48, v254                              // 000000015A90: 0B1DFD30
	v_mul_f32_e32 v143, v48, v255                              // 000000015A94: 0B1FFF30
	v_cvt_pk_fp8_f32 v128, v128, v129                          // 000000015A98: D2A20080 00030380
	v_cvt_pk_fp8_f32 v128, v130, v131 op_sel:[0,0,1]           // 000000015AA0: D2A24080 00030782
	v_cvt_pk_fp8_f32 v129, v132, v133                          // 000000015AA8: D2A20081 00030B84
	v_cvt_pk_fp8_f32 v129, v134, v135 op_sel:[0,0,1]           // 000000015AB0: D2A24081 00030F86
	v_cvt_pk_fp8_f32 v130, v136, v137                          // 000000015AB8: D2A20082 00031388
	v_cvt_pk_fp8_f32 v130, v138, v139 op_sel:[0,0,1]           // 000000015AC0: D2A24082 0003178A
	v_cvt_pk_fp8_f32 v131, v140, v141                          // 000000015AC8: D2A20083 00031B8C
	v_cvt_pk_fp8_f32 v131, v142, v143 op_sel:[0,0,1]           // 000000015AD0: D2A24083 00031F8E
	ds_write_b32 v10, v128 offset:29184                        // 000000015AD8: D81A7200 0000800A
	ds_write_b32 v10, v129 offset:30208                        // 000000015AE0: D81A7600 0000810A
	ds_write_b32 v10, v130 offset:31232                        // 000000015AE8: D81A7A00 0000820A
	ds_write_b32 v10, v131 offset:32256                        // 000000015AF0: D81A7E00 0000830A
	v_add_f32_e32 v216, v216, v184                             // 000000015AF8: 03B171D8
	v_add_f32_e32 v217, v217, v185                             // 000000015AFC: 03B373D9
	v_add_f32_e32 v218, v218, v186                             // 000000015B00: 03B575DA
	v_add_f32_e32 v219, v219, v187                             // 000000015B04: 03B777DB
	v_add_f32_e32 v220, v220, v188                             // 000000015B08: 03B979DC
	v_add_f32_e32 v221, v221, v189                             // 000000015B0C: 03BB7BDD
	v_add_f32_e32 v222, v222, v190                             // 000000015B10: 03BD7DDE
	v_add_f32_e32 v223, v223, v191                             // 000000015B14: 03BF7FDF
	v_rcp_f32_e32 v45, v48                                     // 000000015B18: 7E5A4530
	s_waitcnt lgkmcnt(0)                                       // 000000015B1C: BF8CC07F
	s_barrier                                                  // 000000015B20: BF8A0000
	ds_read_b64 v[128:129], v9 offset:29184                    // 000000015B24: D8EC7200 80000009
	ds_read_b64 v[130:131], v9 offset:29312                    // 000000015B2C: D8EC7280 82000009
	ds_read_b64 v[132:133], v9 offset:30208                    // 000000015B34: D8EC7600 84000009
	ds_read_b64 v[134:135], v9 offset:30336                    // 000000015B3C: D8EC7680 86000009
	ds_read_b64 v[136:137], v9 offset:31232                    // 000000015B44: D8EC7A00 88000009
	ds_read_b64 v[138:139], v9 offset:31360                    // 000000015B4C: D8EC7A80 8A000009
	ds_read_b64 v[140:141], v9 offset:32256                    // 000000015B54: D8EC7E00 8C000009
	ds_read_b64 v[142:143], v9 offset:32384                    // 000000015B5C: D8EC7E80 8E000009
	v_mov_b32_dpp v64, v42 row_shr:4 row_mask:0xf bank_mask:0xf// 000000015B64: 7E8002FA FF01142A
	v_mov_b32_dpp v65, v42 row_shl:4 row_mask:0xf bank_mask:0xf// 000000015B6C: 7E8202FA FF01042A
	v_cndmask_b32_e64 v248, v42, v64, s[44:45]                 // 000000015B74: D10000F8 00B2812A
	v_cndmask_b32_e64 v249, v65, v42, s[44:45]                 // 000000015B7C: D10000F9 00B25541
	v_mov_b32_dpp v64, v248 row_shr:8 row_mask:0xf bank_mask:0xf// 000000015B84: 7E8002FA FF0118F8
	v_mov_b32_dpp v65, v248 row_shl:8 row_mask:0xf bank_mask:0xf// 000000015B8C: 7E8202FA FF0108F8
	v_mov_b32_dpp v66, v249 row_shr:8 row_mask:0xf bank_mask:0xf// 000000015B94: 7E8402FA FF0118F9
	v_mov_b32_dpp v67, v249 row_shl:8 row_mask:0xf bank_mask:0xf// 000000015B9C: 7E8602FA FF0108F9
	v_mov_b32_e32 v68, v248                                    // 000000015BA4: 7E8803F8
	v_mov_b32_e32 v69, v249                                    // 000000015BA8: 7E8A03F9
	v_cndmask_b32_e64 v248, v68, v64, s[42:43]                 // 000000015BAC: D10000F8 00AA8144
	v_cndmask_b32_e64 v250, v68, v65, s[78:79]                 // 000000015BB4: D10000FA 013A8344
	v_cndmask_b32_e64 v249, v69, v66, s[42:43]                 // 000000015BBC: D10000F9 00AA8545
	v_cndmask_b32_e64 v251, v69, v67, s[78:79]                 // 000000015BC4: D10000FB 013A8745
	v_mov_b32_dpp v64, v57 row_shr:4 row_mask:0xf bank_mask:0xf// 000000015BCC: 7E8002FA FF011439
	v_mov_b32_dpp v65, v57 row_shl:4 row_mask:0xf bank_mask:0xf// 000000015BD4: 7E8202FA FF010439
	v_cndmask_b32_e64 v252, v57, v64, s[44:45]                 // 000000015BDC: D10000FC 00B28139
	v_cndmask_b32_e64 v253, v65, v57, s[44:45]                 // 000000015BE4: D10000FD 00B27341
	v_mov_b32_dpp v64, v252 row_shr:8 row_mask:0xf bank_mask:0xf// 000000015BEC: 7E8002FA FF0118FC
	v_mov_b32_dpp v65, v252 row_shl:8 row_mask:0xf bank_mask:0xf// 000000015BF4: 7E8202FA FF0108FC
	v_mov_b32_dpp v66, v253 row_shr:8 row_mask:0xf bank_mask:0xf// 000000015BFC: 7E8402FA FF0118FD
	v_mov_b32_dpp v67, v253 row_shl:8 row_mask:0xf bank_mask:0xf// 000000015C04: 7E8602FA FF0108FD
	v_mov_b32_e32 v68, v252                                    // 000000015C0C: 7E8803FC
	v_mov_b32_e32 v69, v253                                    // 000000015C10: 7E8A03FD
	v_cndmask_b32_e64 v252, v68, v64, s[42:43]                 // 000000015C14: D10000FC 00AA8144
	v_cndmask_b32_e64 v254, v68, v65, s[78:79]                 // 000000015C1C: D10000FE 013A8344
	v_cndmask_b32_e64 v253, v69, v66, s[42:43]                 // 000000015C24: D10000FD 00AA8545
	v_cndmask_b32_e64 v255, v69, v67, s[78:79]                 // 000000015C2C: D10000FF 013A8745
	v_mul_f32_e32 v144, v20, v144                              // 000000015C34: 0B212114
	v_mul_f32_e32 v145, v20, v145                              // 000000015C38: 0B232314
	v_mul_f32_e32 v146, v20, v146                              // 000000015C3C: 0B252514
	v_mul_f32_e32 v147, v20, v147                              // 000000015C40: 0B272714
	v_mul_f32_e32 v148, v20, v148                              // 000000015C44: 0B292914
	v_mul_f32_e32 v149, v20, v149                              // 000000015C48: 0B2B2B14
	v_mul_f32_e32 v150, v20, v150                              // 000000015C4C: 0B2D2D14
	v_mul_f32_e32 v151, v20, v151                              // 000000015C50: 0B2F2F14
	v_mul_f32_e32 v152, v20, v152                              // 000000015C54: 0B313114
	v_mul_f32_e32 v153, v20, v153                              // 000000015C58: 0B333314
	v_mul_f32_e32 v154, v20, v154                              // 000000015C5C: 0B353514
	v_mul_f32_e32 v155, v20, v155                              // 000000015C60: 0B373714
	v_mul_f32_e32 v156, v20, v156                              // 000000015C64: 0B393914
	v_mul_f32_e32 v157, v20, v157                              // 000000015C68: 0B3B3B14
	v_mul_f32_e32 v158, v20, v158                              // 000000015C6C: 0B3D3D14
	v_mul_f32_e32 v159, v20, v159                              // 000000015C70: 0B3F3F14
	v_mul_f32_dpp v144, v248, v144 quad_perm:[0,0,0,0] row_mask:0xf bank_mask:0xf// 000000015C74: 0B2120FA FF0000F8
	v_mul_f32_dpp v145, v248, v145 quad_perm:[1,1,1,1] row_mask:0xf bank_mask:0xf// 000000015C7C: 0B2322FA FF0055F8
	v_mul_f32_dpp v146, v248, v146 quad_perm:[2,2,2,2] row_mask:0xf bank_mask:0xf// 000000015C84: 0B2524FA FF00AAF8
	v_mul_f32_dpp v147, v248, v147 quad_perm:[3,3,3,3] row_mask:0xf bank_mask:0xf// 000000015C8C: 0B2726FA FF00FFF8
	v_mul_f32_dpp v148, v249, v148 quad_perm:[0,0,0,0] row_mask:0xf bank_mask:0xf// 000000015C94: 0B2928FA FF0000F9
	v_mul_f32_dpp v149, v249, v149 quad_perm:[1,1,1,1] row_mask:0xf bank_mask:0xf// 000000015C9C: 0B2B2AFA FF0055F9
	v_mul_f32_dpp v150, v249, v150 quad_perm:[2,2,2,2] row_mask:0xf bank_mask:0xf// 000000015CA4: 0B2D2CFA FF00AAF9
	v_mul_f32_dpp v151, v249, v151 quad_perm:[3,3,3,3] row_mask:0xf bank_mask:0xf// 000000015CAC: 0B2F2EFA FF00FFF9
	v_mul_f32_dpp v152, v250, v152 quad_perm:[0,0,0,0] row_mask:0xf bank_mask:0xf// 000000015CB4: 0B3130FA FF0000FA
	v_mul_f32_dpp v153, v250, v153 quad_perm:[1,1,1,1] row_mask:0xf bank_mask:0xf// 000000015CBC: 0B3332FA FF0055FA
	v_mul_f32_dpp v154, v250, v154 quad_perm:[2,2,2,2] row_mask:0xf bank_mask:0xf// 000000015CC4: 0B3534FA FF00AAFA
	v_mul_f32_dpp v155, v250, v155 quad_perm:[3,3,3,3] row_mask:0xf bank_mask:0xf// 000000015CCC: 0B3736FA FF00FFFA
	v_mul_f32_dpp v156, v251, v156 quad_perm:[0,0,0,0] row_mask:0xf bank_mask:0xf// 000000015CD4: 0B3938FA FF0000FB
	v_mul_f32_dpp v157, v251, v157 quad_perm:[1,1,1,1] row_mask:0xf bank_mask:0xf// 000000015CDC: 0B3B3AFA FF0055FB
	v_mul_f32_dpp v158, v251, v158 quad_perm:[2,2,2,2] row_mask:0xf bank_mask:0xf// 000000015CE4: 0B3D3CFA FF00AAFB
	v_mul_f32_dpp v159, v251, v159 quad_perm:[3,3,3,3] row_mask:0xf bank_mask:0xf// 000000015CEC: 0B3F3EFA FF00FFFB
	s_cmp_le_i32 s90, s89                                      // 000000015CF4: BF05595A
	s_cbranch_scc1 label_4F30                                  // 000000015CF8: BF850071
	v_mov_b32_e32 v66, 0xff800000                              // 000000015CFC: 7E8402FF FF800000
	s_mov_b32 s60, s90                                         // 000000015D04: BEBC005A
	s_add_u32 s61, s89, 0xff                                   // 000000015D08: 803DFF59 000000FF
	v_mov_b32_e32 v64, s61                                     // 000000015D10: 7E80023D
	v_lshrrev_b32_e32 v240, 4, v0                              // 000000015D14: 21E00084
	v_mul_i32_i24_e32 v240, 4, v240                            // 000000015D18: 0DE1E084
	v_add_u32_e32 v240, s60, v240                              // 000000015D1C: 69E1E03C
	s_mov_b32 s61, 2                                           // 000000015D20: BEBD0082
	s_mul_i32 s60, 16, s7                                      // 000000015D24: 923C0790
	v_sub_u32_e64 v240, v240, s61                              // 000000015D28: D13500F0 00007BF0
	v_add_u32_e32 v240, s60, v240                              // 000000015D30: 69E1E03C
	v_add_u32_e32 v241, 1, v240                                // 000000015D34: 69E3E081
	v_add_u32_e32 v242, 2, v240                                // 000000015D38: 69E5E082
	v_add_u32_e32 v243, 3, v240                                // 000000015D3C: 69E7E083
	v_cmp_le_u32_e64 s[40:41], v240, v64                       // 000000015D40: D0CB0028 000281F0
	v_add_u32_e32 v240, 64, v240                               // 000000015D48: 69E1E0C0
	s_nop 0                                                    // 000000015D4C: BF800000
	v_cndmask_b32_e64 v144, v66, v144, s[40:41]                // 000000015D50: D1000090 00A32142
	v_cmp_le_u32_e64 s[40:41], v241, v64                       // 000000015D58: D0CB0028 000281F1
	v_add_u32_e32 v241, 64, v241                               // 000000015D60: 69E3E2C0
	s_nop 0                                                    // 000000015D64: BF800000
	v_cndmask_b32_e64 v145, v66, v145, s[40:41]                // 000000015D68: D1000091 00A32342
	v_cmp_le_u32_e64 s[40:41], v242, v64                       // 000000015D70: D0CB0028 000281F2
	v_add_u32_e32 v242, 64, v242                               // 000000015D78: 69E5E4C0
	s_nop 0                                                    // 000000015D7C: BF800000
	v_cndmask_b32_e64 v146, v66, v146, s[40:41]                // 000000015D80: D1000092 00A32542
	v_cmp_le_u32_e64 s[40:41], v243, v64                       // 000000015D88: D0CB0028 000281F3
	v_add_u32_e32 v243, 64, v243                               // 000000015D90: 69E7E6C0
	s_nop 0                                                    // 000000015D94: BF800000
	v_cndmask_b32_e64 v147, v66, v147, s[40:41]                // 000000015D98: D1000093 00A32742
	v_cmp_le_u32_e64 s[40:41], v240, v64                       // 000000015DA0: D0CB0028 000281F0
	v_add_u32_e32 v240, 64, v240                               // 000000015DA8: 69E1E0C0
	s_nop 0                                                    // 000000015DAC: BF800000
	v_cndmask_b32_e64 v148, v66, v148, s[40:41]                // 000000015DB0: D1000094 00A32942
	v_cmp_le_u32_e64 s[40:41], v241, v64                       // 000000015DB8: D0CB0028 000281F1
	v_add_u32_e32 v241, 64, v241                               // 000000015DC0: 69E3E2C0
	s_nop 0                                                    // 000000015DC4: BF800000
	v_cndmask_b32_e64 v149, v66, v149, s[40:41]                // 000000015DC8: D1000095 00A32B42
	v_cmp_le_u32_e64 s[40:41], v242, v64                       // 000000015DD0: D0CB0028 000281F2
	v_add_u32_e32 v242, 64, v242                               // 000000015DD8: 69E5E4C0
	s_nop 0                                                    // 000000015DDC: BF800000
	v_cndmask_b32_e64 v150, v66, v150, s[40:41]                // 000000015DE0: D1000096 00A32D42
	v_cmp_le_u32_e64 s[40:41], v243, v64                       // 000000015DE8: D0CB0028 000281F3
	v_add_u32_e32 v243, 64, v243                               // 000000015DF0: 69E7E6C0
	s_nop 0                                                    // 000000015DF4: BF800000
	v_cndmask_b32_e64 v151, v66, v151, s[40:41]                // 000000015DF8: D1000097 00A32F42
	v_cmp_le_u32_e64 s[40:41], v240, v64                       // 000000015E00: D0CB0028 000281F0
	v_add_u32_e32 v240, 64, v240                               // 000000015E08: 69E1E0C0
	s_nop 0                                                    // 000000015E0C: BF800000
	v_cndmask_b32_e64 v152, v66, v152, s[40:41]                // 000000015E10: D1000098 00A33142
	v_cmp_le_u32_e64 s[40:41], v241, v64                       // 000000015E18: D0CB0028 000281F1
	v_add_u32_e32 v241, 64, v241                               // 000000015E20: 69E3E2C0
	s_nop 0                                                    // 000000015E24: BF800000
	v_cndmask_b32_e64 v153, v66, v153, s[40:41]                // 000000015E28: D1000099 00A33342
	v_cmp_le_u32_e64 s[40:41], v242, v64                       // 000000015E30: D0CB0028 000281F2
	v_add_u32_e32 v242, 64, v242                               // 000000015E38: 69E5E4C0
	s_nop 0                                                    // 000000015E3C: BF800000
	v_cndmask_b32_e64 v154, v66, v154, s[40:41]                // 000000015E40: D100009A 00A33542
	v_cmp_le_u32_e64 s[40:41], v243, v64                       // 000000015E48: D0CB0028 000281F3
	v_add_u32_e32 v243, 64, v243                               // 000000015E50: 69E7E6C0
	s_nop 0                                                    // 000000015E54: BF800000
	v_cndmask_b32_e64 v155, v66, v155, s[40:41]                // 000000015E58: D100009B 00A33742
	v_cmp_le_u32_e64 s[40:41], v240, v64                       // 000000015E60: D0CB0028 000281F0
	v_add_u32_e32 v240, 64, v240                               // 000000015E68: 69E1E0C0
	s_nop 0                                                    // 000000015E6C: BF800000
	v_cndmask_b32_e64 v156, v66, v156, s[40:41]                // 000000015E70: D100009C 00A33942
	v_cmp_le_u32_e64 s[40:41], v241, v64                       // 000000015E78: D0CB0028 000281F1
	v_add_u32_e32 v241, 64, v241                               // 000000015E80: 69E3E2C0
	s_nop 0                                                    // 000000015E84: BF800000
	v_cndmask_b32_e64 v157, v66, v157, s[40:41]                // 000000015E88: D100009D 00A33B42
	v_cmp_le_u32_e64 s[40:41], v242, v64                       // 000000015E90: D0CB0028 000281F2
	v_add_u32_e32 v242, 64, v242                               // 000000015E98: 69E5E4C0
	s_nop 0                                                    // 000000015E9C: BF800000
	v_cndmask_b32_e64 v158, v66, v158, s[40:41]                // 000000015EA0: D100009E 00A33D42
	v_cmp_le_u32_e64 s[40:41], v243, v64                       // 000000015EA8: D0CB0028 000281F3
	v_add_u32_e32 v243, 64, v243                               // 000000015EB0: 69E7E6C0
	s_nop 0                                                    // 000000015EB4: BF800000
	v_cndmask_b32_e64 v159, v66, v159, s[40:41]                // 000000015EB8: D100009F 00A33F42

0000000000015ec0 <label_4F30>:
	s_add_u32 s90, s91, s90                                    // 000000015EC0: 805A5A5B
	v_mov_b32_e32 v48, v144                                    // 000000015EC4: 7E600390
	v_max3_f32 v48, v144, v145, v48                            // 000000015EC8: D1D30030 04C32390
	v_max3_f32 v48, v146, v147, v48                            // 000000015ED0: D1D30030 04C32792
	v_max3_f32 v48, v148, v149, v48                            // 000000015ED8: D1D30030 04C32B94
	v_max3_f32 v48, v150, v151, v48                            // 000000015EE0: D1D30030 04C32F96
	v_max3_f32 v48, v152, v153, v48                            // 000000015EE8: D1D30030 04C33398
	v_max3_f32 v48, v154, v155, v48                            // 000000015EF0: D1D30030 04C3379A
	v_max3_f32 v48, v156, v157, v48                            // 000000015EF8: D1D30030 04C33B9C
	v_max3_f32 v48, v158, v159, v48                            // 000000015F00: D1D30030 04C33F9E
	ds_write_b32 v8, v48 offset:16896                          // 000000015F08: D81A4200 00003008
	v_mul_f32_e32 v224, v51, v224                              // 000000015F10: 0BC1C133
	v_mul_f32_e32 v225, v51, v225                              // 000000015F14: 0BC3C333
	v_mul_f32_e32 v226, v51, v226                              // 000000015F18: 0BC5C533
	v_mul_f32_e32 v227, v51, v227                              // 000000015F1C: 0BC7C733
	v_mul_f32_e32 v228, v51, v228                              // 000000015F20: 0BC9C933
	v_mul_f32_e32 v229, v51, v229                              // 000000015F24: 0BCBCB33
	v_mul_f32_e32 v230, v51, v230                              // 000000015F28: 0BCDCD33
	v_mul_f32_e32 v231, v51, v231                              // 000000015F2C: 0BCFCF33
	s_waitcnt lgkmcnt(0)                                       // 000000015F30: BF8CC07F
	s_barrier                                                  // 000000015F34: BF8A0000
	ds_read_b32 v64, v7 offset:16896                           // 000000015F38: D86C4200 40000007
	ds_read_b32 v65, v7 offset:16960                           // 000000015F40: D86C4240 41000007
	ds_read_b32 v66, v7 offset:17024                           // 000000015F48: D86C4280 42000007
	ds_read_b32 v67, v7 offset:17088                           // 000000015F50: D86C42C0 43000007
	ds_read_b32 v68, v7 offset:17152                           // 000000015F58: D86C4300 44000007
	ds_read_b32 v69, v7 offset:17216                           // 000000015F60: D86C4340 45000007
	ds_read_b32 v70, v7 offset:17280                           // 000000015F68: D86C4380 46000007
	ds_read_b32 v71, v7 offset:17344                           // 000000015F70: D86C43C0 47000007
	ds_read_b32 v72, v7 offset:17408                           // 000000015F78: D86C4400 48000007
	ds_read_b32 v73, v7 offset:17472                           // 000000015F80: D86C4440 49000007
	ds_read_b32 v74, v7 offset:17536                           // 000000015F88: D86C4480 4A000007
	ds_read_b32 v75, v7 offset:17600                           // 000000015F90: D86C44C0 4B000007
	ds_read_b32 v76, v7 offset:17664                           // 000000015F98: D86C4500 4C000007
	ds_read_b32 v77, v7 offset:17728                           // 000000015FA0: D86C4540 4D000007
	ds_read_b32 v78, v7 offset:17792                           // 000000015FA8: D86C4580 4E000007
	ds_read_b32 v79, v7 offset:17856                           // 000000015FB0: D86C45C0 4F000007
	v_mul_f32_e32 v192, v46, v192                              // 000000015FB8: 0B81812E
	v_mul_f32_e32 v193, v46, v193                              // 000000015FBC: 0B83832E
	v_mul_f32_e32 v194, v46, v194                              // 000000015FC0: 0B85852E
	v_mul_f32_e32 v195, v46, v195                              // 000000015FC4: 0B87872E
	v_mul_f32_e32 v196, v46, v196                              // 000000015FC8: 0B89892E
	v_mul_f32_e32 v197, v46, v197                              // 000000015FCC: 0B8B8B2E
	v_mul_f32_e32 v198, v46, v198                              // 000000015FD0: 0B8D8D2E
	v_mul_f32_e32 v199, v46, v199                              // 000000015FD4: 0B8F8F2E
	s_waitcnt lgkmcnt(0)                                       // 000000015FD8: BF8CC07F
	v_max3_f32 v48, v64, v65, v48                              // 000000015FDC: D1D30030 04C28340
	v_max3_f32 v48, v66, v67, v48                              // 000000015FE4: D1D30030 04C28742
	v_max3_f32 v48, v68, v69, v48                              // 000000015FEC: D1D30030 04C28B44
	v_max3_f32 v48, v70, v71, v48                              // 000000015FF4: D1D30030 04C28F46
	v_max3_f32 v48, v72, v73, v48                              // 000000015FFC: D1D30030 04C29348
	v_max3_f32 v48, v74, v75, v48                              // 000000016004: D1D30030 04C2974A
	v_max3_f32 v48, v76, v77, v48                              // 00000001600C: D1D30030 04C29B4C
	v_max3_f32 v48, v78, v79, v48                              // 000000016014: D1D30030 04C29F4E
	v_mov_b32_e32 v64, 0xff800000                              // 00000001601C: 7E8002FF FF800000
	v_cmp_eq_u32_e64 s[40:41], v64, v13                        // 000000016024: D0CA0028 00021B40
	s_nop 1                                                    // 00000001602C: BF800001
	v_max_f32_e32 v15, v48, v13                                // 000000016030: 161E1B30
	v_mul_f32_e32 v53, s64, v15                                // 000000016034: 0A6A1E40
	v_fma_f32 v144, v144, s64, -v53                            // 000000016038: D1CB0090 84D48190
	v_fma_f32 v145, v145, s64, -v53                            // 000000016040: D1CB0091 84D48191
	v_fma_f32 v146, v146, s64, -v53                            // 000000016048: D1CB0092 84D48192
	v_fma_f32 v147, v147, s64, -v53                            // 000000016050: D1CB0093 84D48193
	v_fma_f32 v148, v148, s64, -v53                            // 000000016058: D1CB0094 84D48194
	v_fma_f32 v149, v149, s64, -v53                            // 000000016060: D1CB0095 84D48195
	v_fma_f32 v150, v150, s64, -v53                            // 000000016068: D1CB0096 84D48196
	v_fma_f32 v151, v151, s64, -v53                            // 000000016070: D1CB0097 84D48197
	v_fma_f32 v152, v152, s64, -v53                            // 000000016078: D1CB0098 84D48198
	v_fma_f32 v153, v153, s64, -v53                            // 000000016080: D1CB0099 84D48199
	v_fma_f32 v154, v154, s64, -v53                            // 000000016088: D1CB009A 84D4819A
	v_fma_f32 v155, v155, s64, -v53                            // 000000016090: D1CB009B 84D4819B
	v_fma_f32 v156, v156, s64, -v53                            // 000000016098: D1CB009C 84D4819C
	v_fma_f32 v157, v157, s64, -v53                            // 0000000160A0: D1CB009D 84D4819D
	v_fma_f32 v158, v158, s64, -v53                            // 0000000160A8: D1CB009E 84D4819E
	v_fma_f32 v159, v159, s64, -v53                            // 0000000160B0: D1CB009F 84D4819F
	v_exp_f32_e32 v144, v144                                   // 0000000160B8: 7F204190
	v_exp_f32_e32 v145, v145                                   // 0000000160BC: 7F224191
	v_exp_f32_e32 v146, v146                                   // 0000000160C0: 7F244192
	v_exp_f32_e32 v147, v147                                   // 0000000160C4: 7F264193
	v_exp_f32_e32 v148, v148                                   // 0000000160C8: 7F284194
	v_exp_f32_e32 v149, v149                                   // 0000000160CC: 7F2A4195
	v_exp_f32_e32 v150, v150                                   // 0000000160D0: 7F2C4196
	v_exp_f32_e32 v151, v151                                   // 0000000160D4: 7F2E4197
	v_exp_f32_e32 v152, v152                                   // 0000000160D8: 7F304198
	v_exp_f32_e32 v153, v153                                   // 0000000160DC: 7F324199
	v_exp_f32_e32 v154, v154                                   // 0000000160E0: 7F34419A
	v_exp_f32_e32 v155, v155                                   // 0000000160E4: 7F36419B
	v_exp_f32_e32 v156, v156                                   // 0000000160E8: 7F38419C
	v_exp_f32_e32 v157, v157                                   // 0000000160EC: 7F3A419D
	v_exp_f32_e32 v158, v158                                   // 0000000160F0: 7F3C419E
	v_exp_f32_e32 v159, v159                                   // 0000000160F4: 7F3E419F
	v_mul_f32_dpp v240, v252, v144 quad_perm:[0,0,0,0] row_mask:0xf bank_mask:0xf// 0000000160F8: 0BE120FA FF0000FC
	v_mul_f32_dpp v241, v252, v145 quad_perm:[1,1,1,1] row_mask:0xf bank_mask:0xf// 000000016100: 0BE322FA FF0055FC
	v_mul_f32_dpp v242, v252, v146 quad_perm:[2,2,2,2] row_mask:0xf bank_mask:0xf// 000000016108: 0BE524FA FF00AAFC
	v_mul_f32_dpp v243, v252, v147 quad_perm:[3,3,3,3] row_mask:0xf bank_mask:0xf// 000000016110: 0BE726FA FF00FFFC
	v_mul_f32_dpp v244, v253, v148 quad_perm:[0,0,0,0] row_mask:0xf bank_mask:0xf// 000000016118: 0BE928FA FF0000FD
	v_mul_f32_dpp v245, v253, v149 quad_perm:[1,1,1,1] row_mask:0xf bank_mask:0xf// 000000016120: 0BEB2AFA FF0055FD
	v_mul_f32_dpp v246, v253, v150 quad_perm:[2,2,2,2] row_mask:0xf bank_mask:0xf// 000000016128: 0BED2CFA FF00AAFD
	v_mul_f32_dpp v247, v253, v151 quad_perm:[3,3,3,3] row_mask:0xf bank_mask:0xf// 000000016130: 0BEF2EFA FF00FFFD
	v_mul_f32_dpp v248, v254, v152 quad_perm:[0,0,0,0] row_mask:0xf bank_mask:0xf// 000000016138: 0BF130FA FF0000FE
	v_mul_f32_dpp v249, v254, v153 quad_perm:[1,1,1,1] row_mask:0xf bank_mask:0xf// 000000016140: 0BF332FA FF0055FE
	v_mul_f32_dpp v250, v254, v154 quad_perm:[2,2,2,2] row_mask:0xf bank_mask:0xf// 000000016148: 0BF534FA FF00AAFE
	v_mul_f32_dpp v251, v254, v155 quad_perm:[3,3,3,3] row_mask:0xf bank_mask:0xf// 000000016150: 0BF736FA FF00FFFE
	v_mul_f32_dpp v252, v255, v156 quad_perm:[0,0,0,0] row_mask:0xf bank_mask:0xf// 000000016158: 0BF938FA FF0000FF
	v_mul_f32_dpp v253, v255, v157 quad_perm:[1,1,1,1] row_mask:0xf bank_mask:0xf// 000000016160: 0BFB3AFA FF0055FF
	v_mul_f32_dpp v254, v255, v158 quad_perm:[2,2,2,2] row_mask:0xf bank_mask:0xf// 000000016168: 0BFD3CFA FF00AAFF
	v_mul_f32_dpp v255, v255, v159 quad_perm:[3,3,3,3] row_mask:0xf bank_mask:0xf// 000000016170: 0BFF3EFA FF00FFFF
	v_mov_b32_e32 v48, 0x358637bd                              // 000000016178: 7E6002FF 358637BD
	v_max3_f32 v48, |v240|, |v241|, v48                        // 000000016180: D1D30330 04C3E3F0
	v_max3_f32 v48, |v242|, |v243|, v48                        // 000000016188: D1D30330 04C3E7F2
	v_max3_f32 v48, |v244|, |v245|, v48                        // 000000016190: D1D30330 04C3EBF4
	v_max3_f32 v48, |v246|, |v247|, v48                        // 000000016198: D1D30330 04C3EFF6
	v_max3_f32 v48, |v248|, |v249|, v48                        // 0000000161A0: D1D30330 04C3F3F8
	v_max3_f32 v48, |v250|, |v251|, v48                        // 0000000161A8: D1D30330 04C3F7FA
	v_max3_f32 v48, |v252|, |v253|, v48                        // 0000000161B0: D1D30330 04C3FBFC
	v_max3_f32 v48, |v254|, |v255|, v48                        // 0000000161B8: D1D30330 04C3FFFE
	ds_write_b32 v8, v48 offset:20992                          // 0000000161C0: D81A5200 00003008
	v_sub_f32_e32 v51, v13, v15                                // 0000000161C8: 04661F0D
	v_cndmask_b32_e64 v51, v51, 0, s[40:41]                    // 0000000161CC: D1000033 00A10133
	v_mov_b32_e32 v13, v15                                     // 0000000161D4: 7E1A030F
	v_mul_f32_e32 v51, s64, v51                                // 0000000161D8: 0A666640
	v_exp_f32_e32 v51, v51                                     // 0000000161DC: 7E664133
	s_waitcnt lgkmcnt(0)                                       // 0000000161E0: BF8CC07F
	s_barrier                                                  // 0000000161E4: BF8A0000
	ds_read_b32 v64, v7 offset:20992                           // 0000000161E8: D86C5200 40000007
	ds_read_b32 v65, v7 offset:21056                           // 0000000161F0: D86C5240 41000007
	ds_read_b32 v66, v7 offset:21120                           // 0000000161F8: D86C5280 42000007
	ds_read_b32 v67, v7 offset:21184                           // 000000016200: D86C52C0 43000007
	ds_read_b32 v68, v7 offset:21248                           // 000000016208: D86C5300 44000007
	ds_read_b32 v69, v7 offset:21312                           // 000000016210: D86C5340 45000007
	ds_read_b32 v70, v7 offset:21376                           // 000000016218: D86C5380 46000007
	ds_read_b32 v71, v7 offset:21440                           // 000000016220: D86C53C0 47000007
	ds_read_b32 v72, v7 offset:21504                           // 000000016228: D86C5400 48000007
	ds_read_b32 v73, v7 offset:21568                           // 000000016230: D86C5440 49000007
	ds_read_b32 v74, v7 offset:21632                           // 000000016238: D86C5480 4A000007
	ds_read_b32 v75, v7 offset:21696                           // 000000016240: D86C54C0 4B000007
	ds_read_b32 v76, v7 offset:21760                           // 000000016248: D86C5500 4C000007
	ds_read_b32 v77, v7 offset:21824                           // 000000016250: D86C5540 4D000007
	ds_read_b32 v78, v7 offset:21888                           // 000000016258: D86C5580 4E000007
	ds_read_b32 v79, v7 offset:21952                           // 000000016260: D86C55C0 4F000007
	v_mul_f32_e32 v40, v51, v40                                // 000000016268: 0A505133
	v_mov_b32_e32 v15, v144                                    // 00000001626C: 7E1E0390
	v_add_f32_e32 v15, v145, v15                               // 000000016270: 021E1F91
	v_add_f32_e32 v15, v146, v15                               // 000000016274: 021E1F92
	v_add_f32_e32 v15, v147, v15                               // 000000016278: 021E1F93
	v_add_f32_e32 v15, v148, v15                               // 00000001627C: 021E1F94
	v_add_f32_e32 v15, v149, v15                               // 000000016280: 021E1F95
	v_add_f32_e32 v15, v150, v15                               // 000000016284: 021E1F96
	v_add_f32_e32 v15, v151, v15                               // 000000016288: 021E1F97
	v_add_f32_e32 v15, v152, v15                               // 00000001628C: 021E1F98
	v_add_f32_e32 v15, v153, v15                               // 000000016290: 021E1F99
	v_add_f32_e32 v15, v154, v15                               // 000000016294: 021E1F9A
	v_add_f32_e32 v15, v155, v15                               // 000000016298: 021E1F9B
	v_add_f32_e32 v15, v156, v15                               // 00000001629C: 021E1F9C
	v_add_f32_e32 v15, v157, v15                               // 0000000162A0: 021E1F9D
	v_add_f32_e32 v15, v158, v15                               // 0000000162A4: 021E1F9E
	v_add_f32_e32 v15, v159, v15                               // 0000000162A8: 021E1F9F
	v_add_f32_e32 v40, v15, v40                                // 0000000162AC: 0250510F
	s_waitcnt lgkmcnt(0)                                       // 0000000162B0: BF8CC07F
	v_max3_f32 v48, |v64|, |v65|, v48                          // 0000000162B4: D1D30330 04C28340
	v_max3_f32 v48, |v66|, |v67|, v48                          // 0000000162BC: D1D30330 04C28742
	v_max3_f32 v48, |v68|, |v69|, v48                          // 0000000162C4: D1D30330 04C28B44
	v_max3_f32 v48, |v70|, |v71|, v48                          // 0000000162CC: D1D30330 04C28F46
	v_max3_f32 v48, |v72|, |v73|, v48                          // 0000000162D4: D1D30330 04C29348
	v_max3_f32 v48, |v74|, |v75|, v48                          // 0000000162DC: D1D30330 04C2974A
	v_max3_f32 v48, |v76|, |v77|, v48                          // 0000000162E4: D1D30330 04C29B4C
	v_max3_f32 v48, |v78|, |v79|, v48                          // 0000000162EC: D1D30330 04C29F4E
	s_nop 2                                                    // 0000000162F4: BF800002
	v_rcp_f32_e32 v48, v48                                     // 0000000162F8: 7E604530
	s_nop 1                                                    // 0000000162FC: BF800001
	v_mul_f32_e32 v48, 0x43e00000, v48                         // 000000016300: 0A6060FF 43E00000
	v_mul_f32_e32 v144, v48, v240                              // 000000016308: 0B21E130
	v_mul_f32_e32 v145, v48, v241                              // 00000001630C: 0B23E330
	v_mul_f32_e32 v146, v48, v242                              // 000000016310: 0B25E530
	v_mul_f32_e32 v147, v48, v243                              // 000000016314: 0B27E730
	v_mul_f32_e32 v148, v48, v244                              // 000000016318: 0B29E930
	v_mul_f32_e32 v149, v48, v245                              // 00000001631C: 0B2BEB30
	v_mul_f32_e32 v150, v48, v246                              // 000000016320: 0B2DED30
	v_mul_f32_e32 v151, v48, v247                              // 000000016324: 0B2FEF30
	v_mul_f32_e32 v152, v48, v248                              // 000000016328: 0B31F130
	v_mul_f32_e32 v153, v48, v249                              // 00000001632C: 0B33F330
	v_mul_f32_e32 v154, v48, v250                              // 000000016330: 0B35F530
	v_mul_f32_e32 v155, v48, v251                              // 000000016334: 0B37F730
	v_mul_f32_e32 v156, v48, v252                              // 000000016338: 0B39F930
	v_mul_f32_e32 v157, v48, v253                              // 00000001633C: 0B3BFB30
	v_mul_f32_e32 v158, v48, v254                              // 000000016340: 0B3DFD30
	v_mul_f32_e32 v159, v48, v255                              // 000000016344: 0B3FFF30
	v_cvt_pk_fp8_f32 v144, v144, v145                          // 000000016348: D2A20090 00032390
	v_cvt_pk_fp8_f32 v144, v146, v147 op_sel:[0,0,1]           // 000000016350: D2A24090 00032792
	v_cvt_pk_fp8_f32 v145, v148, v149                          // 000000016358: D2A20091 00032B94
	v_cvt_pk_fp8_f32 v145, v150, v151 op_sel:[0,0,1]           // 000000016360: D2A24091 00032F96
	v_cvt_pk_fp8_f32 v146, v152, v153                          // 000000016368: D2A20092 00033398
	v_cvt_pk_fp8_f32 v146, v154, v155 op_sel:[0,0,1]           // 000000016370: D2A24092 0003379A
	v_cvt_pk_fp8_f32 v147, v156, v157                          // 000000016378: D2A20093 00033B9C
	v_cvt_pk_fp8_f32 v147, v158, v159 op_sel:[0,0,1]           // 000000016380: D2A24093 00033F9E
	ds_write_b32 v10, v144 offset:33280                        // 000000016388: D81A8200 0000900A
	ds_write_b32 v10, v145 offset:34304                        // 000000016390: D81A8600 0000910A
	ds_write_b32 v10, v146 offset:35328                        // 000000016398: D81A8A00 0000920A
	ds_write_b32 v10, v147 offset:36352                        // 0000000163A0: D81A8E00 0000930A
	v_add_f32_e32 v224, v224, v192                             // 0000000163A8: 03C181E0
	v_add_f32_e32 v225, v225, v193                             // 0000000163AC: 03C383E1
	v_add_f32_e32 v226, v226, v194                             // 0000000163B0: 03C585E2
	v_add_f32_e32 v227, v227, v195                             // 0000000163B4: 03C787E3
	v_add_f32_e32 v228, v228, v196                             // 0000000163B8: 03C989E4
	v_add_f32_e32 v229, v229, v197                             // 0000000163BC: 03CB8BE5
	v_add_f32_e32 v230, v230, v198                             // 0000000163C0: 03CD8DE6
	v_add_f32_e32 v231, v231, v199                             // 0000000163C4: 03CF8FE7
	v_rcp_f32_e32 v46, v48                                     // 0000000163C8: 7E5C4530
	s_waitcnt lgkmcnt(0)                                       // 0000000163CC: BF8CC07F
	s_barrier                                                  // 0000000163D0: BF8A0000
	ds_read_b64 v[144:145], v9 offset:33280                    // 0000000163D4: D8EC8200 90000009
	ds_read_b64 v[146:147], v9 offset:33408                    // 0000000163DC: D8EC8280 92000009
	ds_read_b64 v[148:149], v9 offset:34304                    // 0000000163E4: D8EC8600 94000009
	ds_read_b64 v[150:151], v9 offset:34432                    // 0000000163EC: D8EC8680 96000009
	ds_read_b64 v[152:153], v9 offset:35328                    // 0000000163F4: D8EC8A00 98000009
	ds_read_b64 v[154:155], v9 offset:35456                    // 0000000163FC: D8EC8A80 9A000009
	ds_read_b64 v[156:157], v9 offset:36352                    // 000000016404: D8EC8E00 9C000009
	ds_read_b64 v[158:159], v9 offset:36480                    // 00000001640C: D8EC8E80 9E000009
	s_waitcnt vmcnt(15)                                        // 000000016414: BF8C0F7F
	v_mfma_f32_16x16x32_fp8_fp8 v[176:179], a[64:65], v[112:113], 0// 000000016418: D3F300B0 0A02E140
	buffer_load_dwordx4 a[112:115], v34, s[20:23], 0 offen offset:1024// 000000016420: E05C1400 80857022
	v_mfma_f32_16x16x32_fp8_fp8 v[176:179], a[66:67], v[114:115], v[176:179]// 000000016428: D3F300B0 0EC2E542
	v_mfma_f32_16x16x32_fp8_fp8 v[176:179], a[68:69], v[116:117], v[176:179]// 000000016430: D3F300B0 0EC2E944
	v_mfma_f32_16x16x32_fp8_fp8 v[176:179], a[70:71], v[118:119], v[176:179]// 000000016438: D3F300B0 0EC2ED46
	v_mfma_f32_16x16x32_fp8_fp8 v[176:179], a[72:73], v[120:121], v[176:179]// 000000016440: D3F300B0 0EC2F148
	buffer_load_dwordx4 a[116:119], v35, s[20:23], 0 offen offset:1024// 000000016448: E05C1400 80857423
	v_mfma_f32_16x16x32_fp8_fp8 v[176:179], a[74:75], v[122:123], v[176:179]// 000000016450: D3F300B0 0EC2F54A
	v_mfma_f32_16x16x32_fp8_fp8 v[176:179], a[76:77], v[124:125], v[176:179]// 000000016458: D3F300B0 0EC2F94C
	v_mfma_f32_16x16x32_fp8_fp8 v[176:179], a[78:79], v[126:127], v[176:179]// 000000016460: D3F300B0 0EC2FD4E
	v_mfma_f32_16x16x32_fp8_fp8 v[180:183], a[80:81], v[112:113], 0// 000000016468: D3F300B4 0A02E150
	buffer_load_dwordx4 a[120:123], v36, s[20:23], 0 offen offset:1024// 000000016470: E05C1400 80857824
	v_mfma_f32_16x16x32_fp8_fp8 v[180:183], a[82:83], v[114:115], v[180:183]// 000000016478: D3F300B4 0ED2E552
	v_mfma_f32_16x16x32_fp8_fp8 v[180:183], a[84:85], v[116:117], v[180:183]// 000000016480: D3F300B4 0ED2E954
	v_mfma_f32_16x16x32_fp8_fp8 v[180:183], a[86:87], v[118:119], v[180:183]// 000000016488: D3F300B4 0ED2ED56
	v_mfma_f32_16x16x32_fp8_fp8 v[180:183], a[88:89], v[120:121], v[180:183]// 000000016490: D3F300B4 0ED2F158
	buffer_load_dwordx4 a[124:127], v37, s[20:23], 0 offen offset:1024// 000000016498: E05C1400 80857C25
	v_mfma_f32_16x16x32_fp8_fp8 v[180:183], a[90:91], v[122:123], v[180:183]// 0000000164A0: D3F300B4 0ED2F55A
	v_mfma_f32_16x16x32_fp8_fp8 v[180:183], a[92:93], v[124:125], v[180:183]// 0000000164A8: D3F300B4 0ED2F95C
	s_lshr_b32 s57, s70, 4                                     // 0000000164B0: 8F398446
	s_add_u32 s57, 48, s57                                     // 0000000164B4: 803939B0
	v_mfma_f32_16x16x32_fp8_fp8 v[180:183], a[94:95], v[126:127], v[180:183]// 0000000164B8: D3F300B4 0ED2FD5E
	s_cmp_ge_u32 s57, s73                                      // 0000000164C0: BF094939
	s_cselect_b32 s56, 0, s56                                  // 0000000164C4: 85383880
	v_mfma_f32_16x16x32_fp8_fp8 v[184:187], a[64:65], v[128:129], 0// 0000000164C8: D3F300B8 0A030140
	v_mfma_f32_16x16x32_fp8_fp8 v[184:187], a[66:67], v[130:131], v[184:187]// 0000000164D0: D3F300B8 0EE30542
	v_mfma_f32_16x16x32_fp8_fp8 v[184:187], a[68:69], v[132:133], v[184:187]// 0000000164D8: D3F300B8 0EE30944
	v_mfma_f32_16x16x32_fp8_fp8 v[184:187], a[70:71], v[134:135], v[184:187]// 0000000164E0: D3F300B8 0EE30D46
	v_mfma_f32_16x16x32_fp8_fp8 v[184:187], a[72:73], v[136:137], v[184:187]// 0000000164E8: D3F300B8 0EE31148
	v_mfma_f32_16x16x32_fp8_fp8 v[184:187], a[74:75], v[138:139], v[184:187]// 0000000164F0: D3F300B8 0EE3154A
	v_mfma_f32_16x16x32_fp8_fp8 v[184:187], a[76:77], v[140:141], v[184:187]// 0000000164F8: D3F300B8 0EE3194C
	v_mfma_f32_16x16x32_fp8_fp8 v[184:187], a[78:79], v[142:143], v[184:187]// 000000016500: D3F300B8 0EE31D4E
	v_mfma_f32_16x16x32_fp8_fp8 v[188:191], a[80:81], v[128:129], 0// 000000016508: D3F300BC 0A030150
	v_mfma_f32_16x16x32_fp8_fp8 v[188:191], a[82:83], v[130:131], v[188:191]// 000000016510: D3F300BC 0EF30552
	v_mfma_f32_16x16x32_fp8_fp8 v[188:191], a[84:85], v[132:133], v[188:191]// 000000016518: D3F300BC 0EF30954
	v_mfma_f32_16x16x32_fp8_fp8 v[188:191], a[86:87], v[134:135], v[188:191]// 000000016520: D3F300BC 0EF30D56
	v_mfma_f32_16x16x32_fp8_fp8 v[188:191], a[88:89], v[136:137], v[188:191]// 000000016528: D3F300BC 0EF31158
	v_mfma_f32_16x16x32_fp8_fp8 v[188:191], a[90:91], v[138:139], v[188:191]// 000000016530: D3F300BC 0EF3155A
	v_mfma_f32_16x16x32_fp8_fp8 v[188:191], a[92:93], v[140:141], v[188:191]// 000000016538: D3F300BC 0EF3195C
	v_mfma_f32_16x16x32_fp8_fp8 v[188:191], a[94:95], v[142:143], v[188:191]// 000000016540: D3F300BC 0EF31D5E
	v_mfma_f32_16x16x32_fp8_fp8 v[192:195], a[64:65], v[144:145], 0// 000000016548: D3F300C0 0A032140
	v_mfma_f32_16x16x32_fp8_fp8 v[192:195], a[66:67], v[146:147], v[192:195]// 000000016550: D3F300C0 0F032542
	v_mfma_f32_16x16x32_fp8_fp8 v[192:195], a[68:69], v[148:149], v[192:195]// 000000016558: D3F300C0 0F032944
	v_mfma_f32_16x16x32_fp8_fp8 v[192:195], a[70:71], v[150:151], v[192:195]// 000000016560: D3F300C0 0F032D46
	v_mfma_f32_16x16x32_fp8_fp8 v[192:195], a[72:73], v[152:153], v[192:195]// 000000016568: D3F300C0 0F033148
	v_mfma_f32_16x16x32_fp8_fp8 v[192:195], a[74:75], v[154:155], v[192:195]// 000000016570: D3F300C0 0F03354A
	v_mfma_f32_16x16x32_fp8_fp8 v[192:195], a[76:77], v[156:157], v[192:195]// 000000016578: D3F300C0 0F03394C
	v_mfma_f32_16x16x32_fp8_fp8 v[192:195], a[78:79], v[158:159], v[192:195]// 000000016580: D3F300C0 0F033D4E
	v_mfma_f32_16x16x32_fp8_fp8 v[196:199], a[80:81], v[144:145], 0// 000000016588: D3F300C4 0A032150
	v_mfma_f32_16x16x32_fp8_fp8 v[196:199], a[82:83], v[146:147], v[196:199]// 000000016590: D3F300C4 0F132552
	v_mfma_f32_16x16x32_fp8_fp8 v[196:199], a[84:85], v[148:149], v[196:199]// 000000016598: D3F300C4 0F132954
	v_mfma_f32_16x16x32_fp8_fp8 v[196:199], a[86:87], v[150:151], v[196:199]// 0000000165A0: D3F300C4 0F132D56
	v_mfma_f32_16x16x32_fp8_fp8 v[196:199], a[88:89], v[152:153], v[196:199]// 0000000165A8: D3F300C4 0F133158
	v_mfma_f32_16x16x32_fp8_fp8 v[196:199], a[90:91], v[154:155], v[196:199]// 0000000165B0: D3F300C4 0F13355A
	v_mfma_f32_16x16x32_fp8_fp8 v[196:199], a[92:93], v[156:157], v[196:199]// 0000000165B8: D3F300C4 0F13395C
	v_mfma_f32_16x16x32_fp8_fp8 v[196:199], a[94:95], v[158:159], v[196:199]// 0000000165C0: D3F300C4 0F133D5E
	v_add_u32_e32 v1, s56, v1                                  // 0000000165C8: 68020238
	s_addk_i32 s70, 0x100                                      // 0000000165CC: B7460100
	s_cmp_lt_i32 s70, s71                                      // 0000000165D0: BF044746
	s_cbranch_scc0 label_4963                                  // 0000000165D4: BF84F86D
	s_waitcnt vmcnt(8) lgkmcnt(0)                              // 0000000165D8: BF8C0078
	v_mul_u32_u24_dpp v64, v16, v54 row_newbcast:0 row_mask:0xf bank_mask:0xf// 0000000165DC: 10806CFA FF015010
	v_mul_u32_u24_dpp v65, v16, v54 row_newbcast:4 row_mask:0xf bank_mask:0xf// 0000000165E4: 10826CFA FF015410
	v_mul_u32_u24_dpp v66, v16, v54 row_newbcast:8 row_mask:0xf bank_mask:0xf// 0000000165EC: 10846CFA FF015810
	v_mul_u32_u24_dpp v67, v16, v54 row_newbcast:12 row_mask:0xf bank_mask:0xf// 0000000165F4: 10866CFA FF015C10
	v_add_u32_e32 v22, v64, v5                                 // 0000000165FC: 682C0B40
	v_add_u32_e32 v23, v65, v5                                 // 000000016600: 682E0B41
	v_add_u32_e32 v24, v66, v5                                 // 000000016604: 68300B42
	v_add_u32_e32 v25, v67, v5                                 // 000000016608: 68320B43
	v_mul_u32_u24_dpp v64, v16, v63 quad_perm:[0,0,0,0] row_mask:0xf bank_mask:0xf// 00000001660C: 10807EFA FF000010
	v_add_u32_e32 v2, v64, v59                                 // 000000016614: 68047740
	v_mul_u32_u24_dpp v64, v16, v63 quad_perm:[0,0,0,0] row_mask:0xf bank_mask:0xf// 000000016618: 10807EFA FF000010
	v_add_u32_e32 v55, v64, v60                                // 000000016620: 686E7940
	v_mfma_f32_16x16x32_fp8_fp8 v[112:115], a[32:33], v[80:81], 0// 000000016624: D3F30070 0A02A120
	buffer_load_dwordx4 a[0:3], v22, s[16:19], 0 offen         // 00000001662C: E05C1000 80840016
	v_mfma_f32_16x16x32_fp8_fp8 v[112:115], a[34:35], v[82:83], v[112:115]// 000000016634: D3F30070 0DC2A522
	v_mfma_f32_16x16x32_fp8_fp8 v[112:115], a[36:37], v[84:85], v[112:115]// 00000001663C: D3F30070 0DC2A924
	buffer_load_dword v17, v1, s[24:27], 0 offen               // 000000016644: E0501000 80061101
	v_mfma_f32_16x16x32_fp8_fp8 v[112:115], a[38:39], v[86:87], v[112:115]// 00000001664C: D3F30070 0DC2AD26
	v_mfma_f32_16x16x32_fp8_fp8 v[116:119], a[40:41], v[80:81], 0// 000000016654: D3F30074 0A02A128
	buffer_load_dwordx4 a[4:7], v22, s[16:19], 0 offen offset:1024// 00000001665C: E05C1400 80840416
	v_mfma_f32_16x16x32_fp8_fp8 v[116:119], a[42:43], v[82:83], v[116:119]// 000000016664: D3F30074 0DD2A52A
	v_mfma_f32_16x16x32_fp8_fp8 v[116:119], a[44:45], v[84:85], v[116:119]// 00000001666C: D3F30074 0DD2A92C
	v_mfma_f32_16x16x32_fp8_fp8 v[116:119], a[46:47], v[86:87], v[116:119]// 000000016674: D3F30074 0DD2AD2E
	v_mfma_f32_16x16x32_fp8_fp8 v[120:123], a[48:49], v[80:81], 0// 00000001667C: D3F30078 0A02A130
	buffer_load_dwordx4 a[8:11], v23, s[16:19], 0 offen        // 000000016684: E05C1000 80840817
	v_mfma_f32_16x16x32_fp8_fp8 v[120:123], a[50:51], v[82:83], v[120:123]// 00000001668C: D3F30078 0DE2A532
	v_mfma_f32_16x16x32_fp8_fp8 v[120:123], a[52:53], v[84:85], v[120:123]// 000000016694: D3F30078 0DE2A934
	v_mfma_f32_16x16x32_fp8_fp8 v[120:123], a[54:55], v[86:87], v[120:123]// 00000001669C: D3F30078 0DE2AD36
	v_mfma_f32_16x16x32_fp8_fp8 v[124:127], a[56:57], v[80:81], 0// 0000000166A4: D3F3007C 0A02A138
	buffer_load_dwordx4 a[12:15], v23, s[16:19], 0 offen offset:1024// 0000000166AC: E05C1400 80840C17
	v_mfma_f32_16x16x32_fp8_fp8 v[124:127], a[58:59], v[82:83], v[124:127]// 0000000166B4: D3F3007C 0DF2A53A
	v_mfma_f32_16x16x32_fp8_fp8 v[124:127], a[60:61], v[84:85], v[124:127]// 0000000166BC: D3F3007C 0DF2A93C
	v_mfma_f32_16x16x32_fp8_fp8 v[124:127], a[62:63], v[86:87], v[124:127]// 0000000166C4: D3F3007C 0DF2AD3E
	v_mfma_f32_16x16x32_fp8_fp8 v[128:131], a[32:33], v[88:89], 0// 0000000166CC: D3F30080 0A02B120
	v_mfma_f32_16x16x32_fp8_fp8 v[128:131], a[34:35], v[90:91], v[128:131]// 0000000166D4: D3F30080 0E02B522
	v_mfma_f32_16x16x32_fp8_fp8 v[128:131], a[36:37], v[92:93], v[128:131]// 0000000166DC: D3F30080 0E02B924
	v_mfma_f32_16x16x32_fp8_fp8 v[128:131], a[38:39], v[94:95], v[128:131]// 0000000166E4: D3F30080 0E02BD26
	v_mfma_f32_16x16x32_fp8_fp8 v[132:135], a[40:41], v[88:89], 0// 0000000166EC: D3F30084 0A02B128
	v_mfma_f32_16x16x32_fp8_fp8 v[132:135], a[42:43], v[90:91], v[132:135]// 0000000166F4: D3F30084 0E12B52A
	v_mfma_f32_16x16x32_fp8_fp8 v[132:135], a[44:45], v[92:93], v[132:135]// 0000000166FC: D3F30084 0E12B92C
	v_mfma_f32_16x16x32_fp8_fp8 v[132:135], a[46:47], v[94:95], v[132:135]// 000000016704: D3F30084 0E12BD2E
	v_mfma_f32_16x16x32_fp8_fp8 v[136:139], a[48:49], v[88:89], 0// 00000001670C: D3F30088 0A02B130
	v_mfma_f32_16x16x32_fp8_fp8 v[136:139], a[50:51], v[90:91], v[136:139]// 000000016714: D3F30088 0E22B532
	v_mfma_f32_16x16x32_fp8_fp8 v[136:139], a[52:53], v[92:93], v[136:139]// 00000001671C: D3F30088 0E22B934
	v_mfma_f32_16x16x32_fp8_fp8 v[136:139], a[54:55], v[94:95], v[136:139]// 000000016724: D3F30088 0E22BD36
	v_mfma_f32_16x16x32_fp8_fp8 v[140:143], a[56:57], v[88:89], 0// 00000001672C: D3F3008C 0A02B138
	v_mfma_f32_16x16x32_fp8_fp8 v[140:143], a[58:59], v[90:91], v[140:143]// 000000016734: D3F3008C 0E32B53A
	v_mfma_f32_16x16x32_fp8_fp8 v[140:143], a[60:61], v[92:93], v[140:143]// 00000001673C: D3F3008C 0E32B93C
	v_mfma_f32_16x16x32_fp8_fp8 v[140:143], a[62:63], v[94:95], v[140:143]// 000000016744: D3F3008C 0E32BD3E
	v_mfma_f32_16x16x32_fp8_fp8 v[144:147], a[32:33], v[96:97], 0// 00000001674C: D3F30090 0A02C120
	v_mfma_f32_16x16x32_fp8_fp8 v[144:147], a[34:35], v[98:99], v[144:147]// 000000016754: D3F30090 0E42C522
	v_mfma_f32_16x16x32_fp8_fp8 v[144:147], a[36:37], v[100:101], v[144:147]// 00000001675C: D3F30090 0E42C924
	v_mfma_f32_16x16x32_fp8_fp8 v[144:147], a[38:39], v[102:103], v[144:147]// 000000016764: D3F30090 0E42CD26
	v_mfma_f32_16x16x32_fp8_fp8 v[148:151], a[40:41], v[96:97], 0// 00000001676C: D3F30094 0A02C128
	v_mfma_f32_16x16x32_fp8_fp8 v[148:151], a[42:43], v[98:99], v[148:151]// 000000016774: D3F30094 0E52C52A
	v_mfma_f32_16x16x32_fp8_fp8 v[148:151], a[44:45], v[100:101], v[148:151]// 00000001677C: D3F30094 0E52C92C
	v_mfma_f32_16x16x32_fp8_fp8 v[148:151], a[46:47], v[102:103], v[148:151]// 000000016784: D3F30094 0E52CD2E
	v_mfma_f32_16x16x32_fp8_fp8 v[152:155], a[48:49], v[96:97], 0// 00000001678C: D3F30098 0A02C130
	v_mfma_f32_16x16x32_fp8_fp8 v[152:155], a[50:51], v[98:99], v[152:155]// 000000016794: D3F30098 0E62C532
	v_mfma_f32_16x16x32_fp8_fp8 v[152:155], a[52:53], v[100:101], v[152:155]// 00000001679C: D3F30098 0E62C934
	v_mfma_f32_16x16x32_fp8_fp8 v[152:155], a[54:55], v[102:103], v[152:155]// 0000000167A4: D3F30098 0E62CD36
	v_mfma_f32_16x16x32_fp8_fp8 v[156:159], a[56:57], v[96:97], 0// 0000000167AC: D3F3009C 0A02C138
	v_mfma_f32_16x16x32_fp8_fp8 v[156:159], a[58:59], v[98:99], v[156:159]// 0000000167B4: D3F3009C 0E72C53A
	v_mfma_f32_16x16x32_fp8_fp8 v[156:159], a[60:61], v[100:101], v[156:159]// 0000000167BC: D3F3009C 0E72C93C
	v_mfma_f32_16x16x32_fp8_fp8 v[156:159], a[62:63], v[102:103], v[156:159]// 0000000167C4: D3F3009C 0E72CD3E
	buffer_load_dword v42, v2, s[32:35], 0 offen               // 0000000167CC: E0501000 80082A02
	v_mov_b32_dpp v64, v43 row_shr:4 row_mask:0xf bank_mask:0xf// 0000000167D4: 7E8002FA FF01142B
	v_mov_b32_dpp v65, v43 row_shl:4 row_mask:0xf bank_mask:0xf// 0000000167DC: 7E8202FA FF01042B
	v_cndmask_b32_e64 v248, v43, v64, s[44:45]                 // 0000000167E4: D10000F8 00B2812B
	v_cndmask_b32_e64 v249, v65, v43, s[44:45]                 // 0000000167EC: D10000F9 00B25741
	v_mov_b32_dpp v64, v248 row_shr:8 row_mask:0xf bank_mask:0xf// 0000000167F4: 7E8002FA FF0118F8
	v_mov_b32_dpp v65, v248 row_shl:8 row_mask:0xf bank_mask:0xf// 0000000167FC: 7E8202FA FF0108F8
	v_mov_b32_dpp v66, v249 row_shr:8 row_mask:0xf bank_mask:0xf// 000000016804: 7E8402FA FF0118F9
	v_mov_b32_dpp v67, v249 row_shl:8 row_mask:0xf bank_mask:0xf// 00000001680C: 7E8602FA FF0108F9
	v_mov_b32_e32 v68, v248                                    // 000000016814: 7E8803F8
	v_mov_b32_e32 v69, v249                                    // 000000016818: 7E8A03F9
	v_cndmask_b32_e64 v248, v68, v64, s[42:43]                 // 00000001681C: D10000F8 00AA8144
	v_cndmask_b32_e64 v250, v68, v65, s[78:79]                 // 000000016824: D10000FA 013A8344
	v_cndmask_b32_e64 v249, v69, v66, s[42:43]                 // 00000001682C: D10000F9 00AA8545
	v_cndmask_b32_e64 v251, v69, v67, s[78:79]                 // 000000016834: D10000FB 013A8745
	v_mov_b32_dpp v64, v58 row_shr:4 row_mask:0xf bank_mask:0xf// 00000001683C: 7E8002FA FF01143A
	v_mov_b32_dpp v65, v58 row_shl:4 row_mask:0xf bank_mask:0xf// 000000016844: 7E8202FA FF01043A
	v_cndmask_b32_e64 v252, v58, v64, s[44:45]                 // 00000001684C: D10000FC 00B2813A
	v_cndmask_b32_e64 v253, v65, v58, s[44:45]                 // 000000016854: D10000FD 00B27541
	v_mov_b32_dpp v64, v252 row_shr:8 row_mask:0xf bank_mask:0xf// 00000001685C: 7E8002FA FF0118FC
	v_mov_b32_dpp v65, v252 row_shl:8 row_mask:0xf bank_mask:0xf// 000000016864: 7E8202FA FF0108FC
	v_mov_b32_dpp v66, v253 row_shr:8 row_mask:0xf bank_mask:0xf// 00000001686C: 7E8402FA FF0118FD
	v_mov_b32_dpp v67, v253 row_shl:8 row_mask:0xf bank_mask:0xf// 000000016874: 7E8602FA FF0108FD
	v_mov_b32_e32 v68, v252                                    // 00000001687C: 7E8803FC
	v_mov_b32_e32 v69, v253                                    // 000000016880: 7E8A03FD
	v_cndmask_b32_e64 v252, v68, v64, s[42:43]                 // 000000016884: D10000FC 00AA8144
	v_cndmask_b32_e64 v254, v68, v65, s[78:79]                 // 00000001688C: D10000FE 013A8344
	v_cndmask_b32_e64 v253, v69, v66, s[42:43]                 // 000000016894: D10000FD 00AA8545
	v_cndmask_b32_e64 v255, v69, v67, s[78:79]                 // 00000001689C: D10000FF 013A8745
	buffer_load_dword v57, v55, s[36:39], 0 offen              // 0000000168A4: E0501000 80093937
	v_mul_f32_e32 v112, v18, v112                              // 0000000168AC: 0AE0E112
	v_mul_f32_e32 v113, v18, v113                              // 0000000168B0: 0AE2E312
	v_mul_f32_e32 v114, v18, v114                              // 0000000168B4: 0AE4E512
	v_mul_f32_e32 v115, v18, v115                              // 0000000168B8: 0AE6E712
	v_mul_f32_e32 v116, v18, v116                              // 0000000168BC: 0AE8E912
	v_mul_f32_e32 v117, v18, v117                              // 0000000168C0: 0AEAEB12
	v_mul_f32_e32 v118, v18, v118                              // 0000000168C4: 0AECED12
	v_mul_f32_e32 v119, v18, v119                              // 0000000168C8: 0AEEEF12
	v_mul_f32_e32 v120, v18, v120                              // 0000000168CC: 0AF0F112
	v_mul_f32_e32 v121, v18, v121                              // 0000000168D0: 0AF2F312
	v_mul_f32_e32 v122, v18, v122                              // 0000000168D4: 0AF4F512
	v_mul_f32_e32 v123, v18, v123                              // 0000000168D8: 0AF6F712
	v_mul_f32_e32 v124, v18, v124                              // 0000000168DC: 0AF8F912
	v_mul_f32_e32 v125, v18, v125                              // 0000000168E0: 0AFAFB12
	v_mul_f32_e32 v126, v18, v126                              // 0000000168E4: 0AFCFD12
	v_mul_f32_e32 v127, v18, v127                              // 0000000168E8: 0AFEFF12
	buffer_load_dwordx4 a[16:19], v24, s[16:19], 0 offen       // 0000000168EC: E05C1000 80841018
	v_mul_f32_dpp v112, v248, v112 quad_perm:[0,0,0,0] row_mask:0xf bank_mask:0xf// 0000000168F4: 0AE0E0FA FF0000F8
	v_mul_f32_dpp v113, v248, v113 quad_perm:[1,1,1,1] row_mask:0xf bank_mask:0xf// 0000000168FC: 0AE2E2FA FF0055F8
	v_mul_f32_dpp v114, v248, v114 quad_perm:[2,2,2,2] row_mask:0xf bank_mask:0xf// 000000016904: 0AE4E4FA FF00AAF8
	v_mul_f32_dpp v115, v248, v115 quad_perm:[3,3,3,3] row_mask:0xf bank_mask:0xf// 00000001690C: 0AE6E6FA FF00FFF8
	v_mul_f32_dpp v116, v249, v116 quad_perm:[0,0,0,0] row_mask:0xf bank_mask:0xf// 000000016914: 0AE8E8FA FF0000F9
	v_mul_f32_dpp v117, v249, v117 quad_perm:[1,1,1,1] row_mask:0xf bank_mask:0xf// 00000001691C: 0AEAEAFA FF0055F9
	v_mul_f32_dpp v118, v249, v118 quad_perm:[2,2,2,2] row_mask:0xf bank_mask:0xf// 000000016924: 0AECECFA FF00AAF9
	v_mul_f32_dpp v119, v249, v119 quad_perm:[3,3,3,3] row_mask:0xf bank_mask:0xf// 00000001692C: 0AEEEEFA FF00FFF9
	v_mul_f32_dpp v120, v250, v120 quad_perm:[0,0,0,0] row_mask:0xf bank_mask:0xf// 000000016934: 0AF0F0FA FF0000FA
	v_mul_f32_dpp v121, v250, v121 quad_perm:[1,1,1,1] row_mask:0xf bank_mask:0xf// 00000001693C: 0AF2F2FA FF0055FA
	v_mul_f32_dpp v122, v250, v122 quad_perm:[2,2,2,2] row_mask:0xf bank_mask:0xf// 000000016944: 0AF4F4FA FF00AAFA
	v_mul_f32_dpp v123, v250, v123 quad_perm:[3,3,3,3] row_mask:0xf bank_mask:0xf// 00000001694C: 0AF6F6FA FF00FFFA
	v_mul_f32_dpp v124, v251, v124 quad_perm:[0,0,0,0] row_mask:0xf bank_mask:0xf// 000000016954: 0AF8F8FA FF0000FB
	v_mul_f32_dpp v125, v251, v125 quad_perm:[1,1,1,1] row_mask:0xf bank_mask:0xf// 00000001695C: 0AFAFAFA FF0055FB
	v_mul_f32_dpp v126, v251, v126 quad_perm:[2,2,2,2] row_mask:0xf bank_mask:0xf// 000000016964: 0AFCFCFA FF00AAFB
	v_mul_f32_dpp v127, v251, v127 quad_perm:[3,3,3,3] row_mask:0xf bank_mask:0xf// 00000001696C: 0AFEFEFA FF00FFFB
	buffer_load_dwordx4 a[20:23], v24, s[16:19], 0 offen offset:1024// 000000016974: E05C1400 80841418
	s_cmp_le_i32 s90, s89                                      // 00000001697C: BF05595A
	s_cbranch_scc1 label_5252                                  // 000000016980: BF850071
	v_mov_b32_e32 v66, 0xff800000                              // 000000016984: 7E8402FF FF800000
	s_mov_b32 s60, s90                                         // 00000001698C: BEBC005A
	s_add_u32 s61, s89, 0xff                                   // 000000016990: 803DFF59 000000FF
	v_mov_b32_e32 v64, s61                                     // 000000016998: 7E80023D
	v_lshrrev_b32_e32 v240, 4, v0                              // 00000001699C: 21E00084
	v_mul_i32_i24_e32 v240, 4, v240                            // 0000000169A0: 0DE1E084
	v_add_u32_e32 v240, s60, v240                              // 0000000169A4: 69E1E03C
	s_mov_b32 s61, 0                                           // 0000000169A8: BEBD0080
	s_mul_i32 s60, 16, s7                                      // 0000000169AC: 923C0790
	v_sub_u32_e64 v240, v240, s61                              // 0000000169B0: D13500F0 00007BF0
	v_add_u32_e32 v240, s60, v240                              // 0000000169B8: 69E1E03C
	v_add_u32_e32 v241, 1, v240                                // 0000000169BC: 69E3E081
	v_add_u32_e32 v242, 2, v240                                // 0000000169C0: 69E5E082
	v_add_u32_e32 v243, 3, v240                                // 0000000169C4: 69E7E083
	v_cmp_le_u32_e64 s[40:41], v240, v64                       // 0000000169C8: D0CB0028 000281F0
	v_add_u32_e32 v240, 64, v240                               // 0000000169D0: 69E1E0C0
	s_nop 0                                                    // 0000000169D4: BF800000
	v_cndmask_b32_e64 v112, v66, v112, s[40:41]                // 0000000169D8: D1000070 00A2E142
	v_cmp_le_u32_e64 s[40:41], v241, v64                       // 0000000169E0: D0CB0028 000281F1
	v_add_u32_e32 v241, 64, v241                               // 0000000169E8: 69E3E2C0
	s_nop 0                                                    // 0000000169EC: BF800000
	v_cndmask_b32_e64 v113, v66, v113, s[40:41]                // 0000000169F0: D1000071 00A2E342
	v_cmp_le_u32_e64 s[40:41], v242, v64                       // 0000000169F8: D0CB0028 000281F2
	v_add_u32_e32 v242, 64, v242                               // 000000016A00: 69E5E4C0
	s_nop 0                                                    // 000000016A04: BF800000
	v_cndmask_b32_e64 v114, v66, v114, s[40:41]                // 000000016A08: D1000072 00A2E542
	v_cmp_le_u32_e64 s[40:41], v243, v64                       // 000000016A10: D0CB0028 000281F3
	v_add_u32_e32 v243, 64, v243                               // 000000016A18: 69E7E6C0
	s_nop 0                                                    // 000000016A1C: BF800000
	v_cndmask_b32_e64 v115, v66, v115, s[40:41]                // 000000016A20: D1000073 00A2E742
	v_cmp_le_u32_e64 s[40:41], v240, v64                       // 000000016A28: D0CB0028 000281F0
	v_add_u32_e32 v240, 64, v240                               // 000000016A30: 69E1E0C0
	s_nop 0                                                    // 000000016A34: BF800000
	v_cndmask_b32_e64 v116, v66, v116, s[40:41]                // 000000016A38: D1000074 00A2E942
	v_cmp_le_u32_e64 s[40:41], v241, v64                       // 000000016A40: D0CB0028 000281F1
	v_add_u32_e32 v241, 64, v241                               // 000000016A48: 69E3E2C0
	s_nop 0                                                    // 000000016A4C: BF800000
	v_cndmask_b32_e64 v117, v66, v117, s[40:41]                // 000000016A50: D1000075 00A2EB42
	v_cmp_le_u32_e64 s[40:41], v242, v64                       // 000000016A58: D0CB0028 000281F2
	v_add_u32_e32 v242, 64, v242                               // 000000016A60: 69E5E4C0
	s_nop 0                                                    // 000000016A64: BF800000
	v_cndmask_b32_e64 v118, v66, v118, s[40:41]                // 000000016A68: D1000076 00A2ED42
	v_cmp_le_u32_e64 s[40:41], v243, v64                       // 000000016A70: D0CB0028 000281F3
	v_add_u32_e32 v243, 64, v243                               // 000000016A78: 69E7E6C0
	s_nop 0                                                    // 000000016A7C: BF800000
	v_cndmask_b32_e64 v119, v66, v119, s[40:41]                // 000000016A80: D1000077 00A2EF42
	v_cmp_le_u32_e64 s[40:41], v240, v64                       // 000000016A88: D0CB0028 000281F0
	v_add_u32_e32 v240, 64, v240                               // 000000016A90: 69E1E0C0
	s_nop 0                                                    // 000000016A94: BF800000
	v_cndmask_b32_e64 v120, v66, v120, s[40:41]                // 000000016A98: D1000078 00A2F142
	v_cmp_le_u32_e64 s[40:41], v241, v64                       // 000000016AA0: D0CB0028 000281F1
	v_add_u32_e32 v241, 64, v241                               // 000000016AA8: 69E3E2C0
	s_nop 0                                                    // 000000016AAC: BF800000
	v_cndmask_b32_e64 v121, v66, v121, s[40:41]                // 000000016AB0: D1000079 00A2F342
	v_cmp_le_u32_e64 s[40:41], v242, v64                       // 000000016AB8: D0CB0028 000281F2
	v_add_u32_e32 v242, 64, v242                               // 000000016AC0: 69E5E4C0
	s_nop 0                                                    // 000000016AC4: BF800000
	v_cndmask_b32_e64 v122, v66, v122, s[40:41]                // 000000016AC8: D100007A 00A2F542
	v_cmp_le_u32_e64 s[40:41], v243, v64                       // 000000016AD0: D0CB0028 000281F3
	v_add_u32_e32 v243, 64, v243                               // 000000016AD8: 69E7E6C0
	s_nop 0                                                    // 000000016ADC: BF800000
	v_cndmask_b32_e64 v123, v66, v123, s[40:41]                // 000000016AE0: D100007B 00A2F742
	v_cmp_le_u32_e64 s[40:41], v240, v64                       // 000000016AE8: D0CB0028 000281F0
	v_add_u32_e32 v240, 64, v240                               // 000000016AF0: 69E1E0C0
	s_nop 0                                                    // 000000016AF4: BF800000
	v_cndmask_b32_e64 v124, v66, v124, s[40:41]                // 000000016AF8: D100007C 00A2F942
	v_cmp_le_u32_e64 s[40:41], v241, v64                       // 000000016B00: D0CB0028 000281F1
	v_add_u32_e32 v241, 64, v241                               // 000000016B08: 69E3E2C0
	s_nop 0                                                    // 000000016B0C: BF800000
	v_cndmask_b32_e64 v125, v66, v125, s[40:41]                // 000000016B10: D100007D 00A2FB42
	v_cmp_le_u32_e64 s[40:41], v242, v64                       // 000000016B18: D0CB0028 000281F2
	v_add_u32_e32 v242, 64, v242                               // 000000016B20: 69E5E4C0
	s_nop 0                                                    // 000000016B24: BF800000
	v_cndmask_b32_e64 v126, v66, v126, s[40:41]                // 000000016B28: D100007E 00A2FD42
	v_cmp_le_u32_e64 s[40:41], v243, v64                       // 000000016B30: D0CB0028 000281F3
	v_add_u32_e32 v243, 64, v243                               // 000000016B38: 69E7E6C0
	s_nop 0                                                    // 000000016B3C: BF800000
	v_cndmask_b32_e64 v127, v66, v127, s[40:41]                // 000000016B40: D100007F 00A2FF42

0000000000016b48 <label_5252>:
	v_mov_b32_e32 v48, v112                                    // 000000016B48: 7E600370
	v_max3_f32 v48, v112, v113, v48                            // 000000016B4C: D1D30030 04C2E370
	v_max3_f32 v48, v114, v115, v48                            // 000000016B54: D1D30030 04C2E772
	v_max3_f32 v48, v116, v117, v48                            // 000000016B5C: D1D30030 04C2EB74
	v_max3_f32 v48, v118, v119, v48                            // 000000016B64: D1D30030 04C2EF76
	v_max3_f32 v48, v120, v121, v48                            // 000000016B6C: D1D30030 04C2F378
	v_max3_f32 v48, v122, v123, v48                            // 000000016B74: D1D30030 04C2F77A
	v_max3_f32 v48, v124, v125, v48                            // 000000016B7C: D1D30030 04C2FB7C
	v_max3_f32 v48, v126, v127, v48                            // 000000016B84: D1D30030 04C2FF7E
	ds_write_b32 v8, v48 offset:16896                          // 000000016B8C: D81A4200 00003008
	buffer_load_dwordx4 a[24:27], v25, s[16:19], 0 offen       // 000000016B94: E05C1000 80841819
	v_mul_u32_u24_dpp v64, v16, v54 row_newbcast:1 row_mask:0xf bank_mask:0xf// 000000016B9C: 10806CFA FF015110
	v_mul_u32_u24_dpp v65, v16, v54 row_newbcast:5 row_mask:0xf bank_mask:0xf// 000000016BA4: 10826CFA FF015510
	v_mul_u32_u24_dpp v66, v16, v54 row_newbcast:9 row_mask:0xf bank_mask:0xf// 000000016BAC: 10846CFA FF015910
	v_mul_u32_u24_dpp v67, v16, v54 row_newbcast:13 row_mask:0xf bank_mask:0xf// 000000016BB4: 10866CFA FF015D10
	v_add_u32_e32 v30, v64, v6                                 // 000000016BBC: 683C0D40
	v_add_u32_e32 v31, v65, v6                                 // 000000016BC0: 683E0D41
	v_add_u32_e32 v32, v66, v6                                 // 000000016BC4: 68400D42
	v_add_u32_e32 v33, v67, v6                                 // 000000016BC8: 68420D43
	v_mul_f32_e32 v208, v49, v208                              // 000000016BCC: 0BA1A131
	v_mul_f32_e32 v209, v49, v209                              // 000000016BD0: 0BA3A331
	v_mul_f32_e32 v210, v49, v210                              // 000000016BD4: 0BA5A531
	v_mul_f32_e32 v211, v49, v211                              // 000000016BD8: 0BA7A731
	v_mul_f32_e32 v212, v49, v212                              // 000000016BDC: 0BA9A931
	v_mul_f32_e32 v213, v49, v213                              // 000000016BE0: 0BABAB31
	v_mul_f32_e32 v214, v49, v214                              // 000000016BE4: 0BADAD31
	v_mul_f32_e32 v215, v49, v215                              // 000000016BE8: 0BAFAF31
	s_waitcnt lgkmcnt(0)                                       // 000000016BEC: BF8CC07F
	s_barrier                                                  // 000000016BF0: BF8A0000
	ds_read_b32 v64, v7 offset:16896                           // 000000016BF4: D86C4200 40000007
	ds_read_b32 v65, v7 offset:16960                           // 000000016BFC: D86C4240 41000007
	ds_read_b32 v66, v7 offset:17024                           // 000000016C04: D86C4280 42000007
	ds_read_b32 v67, v7 offset:17088                           // 000000016C0C: D86C42C0 43000007
	ds_read_b32 v68, v7 offset:17152                           // 000000016C14: D86C4300 44000007
	ds_read_b32 v69, v7 offset:17216                           // 000000016C1C: D86C4340 45000007
	ds_read_b32 v70, v7 offset:17280                           // 000000016C24: D86C4380 46000007
	ds_read_b32 v71, v7 offset:17344                           // 000000016C2C: D86C43C0 47000007
	ds_read_b32 v72, v7 offset:17408                           // 000000016C34: D86C4400 48000007
	ds_read_b32 v73, v7 offset:17472                           // 000000016C3C: D86C4440 49000007
	ds_read_b32 v74, v7 offset:17536                           // 000000016C44: D86C4480 4A000007
	ds_read_b32 v75, v7 offset:17600                           // 000000016C4C: D86C44C0 4B000007
	ds_read_b32 v76, v7 offset:17664                           // 000000016C54: D86C4500 4C000007
	ds_read_b32 v77, v7 offset:17728                           // 000000016C5C: D86C4540 4D000007
	ds_read_b32 v78, v7 offset:17792                           // 000000016C64: D86C4580 4E000007
	ds_read_b32 v79, v7 offset:17856                           // 000000016C6C: D86C45C0 4F000007
	buffer_load_dwordx4 a[28:31], v25, s[16:19], 0 offen offset:1024// 000000016C74: E05C1400 80841C19
	v_mul_f32_e32 v176, v44, v176                              // 000000016C7C: 0B61612C
	v_mul_f32_e32 v177, v44, v177                              // 000000016C80: 0B63632C
	v_mul_f32_e32 v178, v44, v178                              // 000000016C84: 0B65652C
	v_mul_f32_e32 v179, v44, v179                              // 000000016C88: 0B67672C
	v_mul_f32_e32 v180, v44, v180                              // 000000016C8C: 0B69692C
	v_mul_f32_e32 v181, v44, v181                              // 000000016C90: 0B6B6B2C
	v_mul_f32_e32 v182, v44, v182                              // 000000016C94: 0B6D6D2C
	v_mul_f32_e32 v183, v44, v183                              // 000000016C98: 0B6F6F2C
	s_waitcnt lgkmcnt(0)                                       // 000000016C9C: BF8CC07F
	v_max3_f32 v48, v64, v65, v48                              // 000000016CA0: D1D30030 04C28340
	v_max3_f32 v48, v66, v67, v48                              // 000000016CA8: D1D30030 04C28742
	v_max3_f32 v48, v68, v69, v48                              // 000000016CB0: D1D30030 04C28B44
	v_max3_f32 v48, v70, v71, v48                              // 000000016CB8: D1D30030 04C28F46
	v_max3_f32 v48, v72, v73, v48                              // 000000016CC0: D1D30030 04C29348
	v_max3_f32 v48, v74, v75, v48                              // 000000016CC8: D1D30030 04C2974A
	v_max3_f32 v48, v76, v77, v48                              // 000000016CD0: D1D30030 04C29B4C
	v_max3_f32 v48, v78, v79, v48                              // 000000016CD8: D1D30030 04C29F4E
	buffer_load_dwordx4 a[64:67], v30, s[20:23], 0 offen       // 000000016CE0: E05C1000 8085401E
	v_mov_b32_e32 v64, 0xff800000                              // 000000016CE8: 7E8002FF FF800000
	v_cmp_eq_u32_e64 s[40:41], v64, v11                        // 000000016CF0: D0CA0028 00021740
	s_nop 1                                                    // 000000016CF8: BF800001
	v_max_f32_e32 v15, v48, v11                                // 000000016CFC: 161E1730
	v_mul_f32_e32 v53, s64, v15                                // 000000016D00: 0A6A1E40
	v_fma_f32 v112, v112, s64, -v53                            // 000000016D04: D1CB0070 84D48170
	v_fma_f32 v113, v113, s64, -v53                            // 000000016D0C: D1CB0071 84D48171
	v_fma_f32 v114, v114, s64, -v53                            // 000000016D14: D1CB0072 84D48172
	v_fma_f32 v115, v115, s64, -v53                            // 000000016D1C: D1CB0073 84D48173
	v_fma_f32 v116, v116, s64, -v53                            // 000000016D24: D1CB0074 84D48174
	v_fma_f32 v117, v117, s64, -v53                            // 000000016D2C: D1CB0075 84D48175
	v_fma_f32 v118, v118, s64, -v53                            // 000000016D34: D1CB0076 84D48176
	v_fma_f32 v119, v119, s64, -v53                            // 000000016D3C: D1CB0077 84D48177
	v_fma_f32 v120, v120, s64, -v53                            // 000000016D44: D1CB0078 84D48178
	v_fma_f32 v121, v121, s64, -v53                            // 000000016D4C: D1CB0079 84D48179
	v_fma_f32 v122, v122, s64, -v53                            // 000000016D54: D1CB007A 84D4817A
	v_fma_f32 v123, v123, s64, -v53                            // 000000016D5C: D1CB007B 84D4817B
	v_fma_f32 v124, v124, s64, -v53                            // 000000016D64: D1CB007C 84D4817C
	v_fma_f32 v125, v125, s64, -v53                            // 000000016D6C: D1CB007D 84D4817D
	v_fma_f32 v126, v126, s64, -v53                            // 000000016D74: D1CB007E 84D4817E
	v_fma_f32 v127, v127, s64, -v53                            // 000000016D7C: D1CB007F 84D4817F
	buffer_load_dwordx4 a[68:71], v31, s[20:23], 0 offen       // 000000016D84: E05C1000 8085441F
	v_exp_f32_e32 v112, v112                                   // 000000016D8C: 7EE04170
	v_exp_f32_e32 v113, v113                                   // 000000016D90: 7EE24171
	v_exp_f32_e32 v114, v114                                   // 000000016D94: 7EE44172
	v_exp_f32_e32 v115, v115                                   // 000000016D98: 7EE64173
	v_exp_f32_e32 v116, v116                                   // 000000016D9C: 7EE84174
	v_exp_f32_e32 v117, v117                                   // 000000016DA0: 7EEA4175
	v_exp_f32_e32 v118, v118                                   // 000000016DA4: 7EEC4176
	v_exp_f32_e32 v119, v119                                   // 000000016DA8: 7EEE4177
	v_exp_f32_e32 v120, v120                                   // 000000016DAC: 7EF04178
	v_exp_f32_e32 v121, v121                                   // 000000016DB0: 7EF24179
	v_exp_f32_e32 v122, v122                                   // 000000016DB4: 7EF4417A
	v_exp_f32_e32 v123, v123                                   // 000000016DB8: 7EF6417B
	v_exp_f32_e32 v124, v124                                   // 000000016DBC: 7EF8417C
	v_exp_f32_e32 v125, v125                                   // 000000016DC0: 7EFA417D
	v_exp_f32_e32 v126, v126                                   // 000000016DC4: 7EFC417E
	v_exp_f32_e32 v127, v127                                   // 000000016DC8: 7EFE417F
	buffer_load_dwordx4 a[72:75], v32, s[20:23], 0 offen       // 000000016DCC: E05C1000 80854820
	v_mul_f32_dpp v240, v252, v112 quad_perm:[0,0,0,0] row_mask:0xf bank_mask:0xf// 000000016DD4: 0BE0E0FA FF0000FC
	v_mul_f32_dpp v241, v252, v113 quad_perm:[1,1,1,1] row_mask:0xf bank_mask:0xf// 000000016DDC: 0BE2E2FA FF0055FC
	v_mul_f32_dpp v242, v252, v114 quad_perm:[2,2,2,2] row_mask:0xf bank_mask:0xf// 000000016DE4: 0BE4E4FA FF00AAFC
	v_mul_f32_dpp v243, v252, v115 quad_perm:[3,3,3,3] row_mask:0xf bank_mask:0xf// 000000016DEC: 0BE6E6FA FF00FFFC
	v_mul_f32_dpp v244, v253, v116 quad_perm:[0,0,0,0] row_mask:0xf bank_mask:0xf// 000000016DF4: 0BE8E8FA FF0000FD
	v_mul_f32_dpp v245, v253, v117 quad_perm:[1,1,1,1] row_mask:0xf bank_mask:0xf// 000000016DFC: 0BEAEAFA FF0055FD
	v_mul_f32_dpp v246, v253, v118 quad_perm:[2,2,2,2] row_mask:0xf bank_mask:0xf// 000000016E04: 0BECECFA FF00AAFD
	v_mul_f32_dpp v247, v253, v119 quad_perm:[3,3,3,3] row_mask:0xf bank_mask:0xf// 000000016E0C: 0BEEEEFA FF00FFFD
	v_mul_f32_dpp v248, v254, v120 quad_perm:[0,0,0,0] row_mask:0xf bank_mask:0xf// 000000016E14: 0BF0F0FA FF0000FE
	v_mul_f32_dpp v249, v254, v121 quad_perm:[1,1,1,1] row_mask:0xf bank_mask:0xf// 000000016E1C: 0BF2F2FA FF0055FE
	v_mul_f32_dpp v250, v254, v122 quad_perm:[2,2,2,2] row_mask:0xf bank_mask:0xf// 000000016E24: 0BF4F4FA FF00AAFE
	v_mul_f32_dpp v251, v254, v123 quad_perm:[3,3,3,3] row_mask:0xf bank_mask:0xf// 000000016E2C: 0BF6F6FA FF00FFFE
	v_mul_f32_dpp v252, v255, v124 quad_perm:[0,0,0,0] row_mask:0xf bank_mask:0xf// 000000016E34: 0BF8F8FA FF0000FF
	v_mul_f32_dpp v253, v255, v125 quad_perm:[1,1,1,1] row_mask:0xf bank_mask:0xf// 000000016E3C: 0BFAFAFA FF0055FF
	v_mul_f32_dpp v254, v255, v126 quad_perm:[2,2,2,2] row_mask:0xf bank_mask:0xf// 000000016E44: 0BFCFCFA FF00AAFF
	v_mul_f32_dpp v255, v255, v127 quad_perm:[3,3,3,3] row_mask:0xf bank_mask:0xf// 000000016E4C: 0BFEFEFA FF00FFFF
	v_mov_b32_e32 v48, 0x358637bd                              // 000000016E54: 7E6002FF 358637BD
	v_max3_f32 v48, |v240|, |v241|, v48                        // 000000016E5C: D1D30330 04C3E3F0
	v_max3_f32 v48, |v242|, |v243|, v48                        // 000000016E64: D1D30330 04C3E7F2
	v_max3_f32 v48, |v244|, |v245|, v48                        // 000000016E6C: D1D30330 04C3EBF4
	v_max3_f32 v48, |v246|, |v247|, v48                        // 000000016E74: D1D30330 04C3EFF6
	v_max3_f32 v48, |v248|, |v249|, v48                        // 000000016E7C: D1D30330 04C3F3F8
	v_max3_f32 v48, |v250|, |v251|, v48                        // 000000016E84: D1D30330 04C3F7FA
	v_max3_f32 v48, |v252|, |v253|, v48                        // 000000016E8C: D1D30330 04C3FBFC
	v_max3_f32 v48, |v254|, |v255|, v48                        // 000000016E94: D1D30330 04C3FFFE
	buffer_load_dwordx4 a[76:79], v33, s[20:23], 0 offen       // 000000016E9C: E05C1000 80854C21
	ds_write_b32 v8, v48 offset:20992                          // 000000016EA4: D81A5200 00003008
	v_sub_f32_e32 v49, v11, v15                                // 000000016EAC: 04621F0B
	v_cndmask_b32_e64 v49, v49, 0, s[40:41]                    // 000000016EB0: D1000031 00A10131
	v_mov_b32_e32 v11, v15                                     // 000000016EB8: 7E16030F
	v_mul_f32_e32 v49, s64, v49                                // 000000016EBC: 0A626240
	v_exp_f32_e32 v49, v49                                     // 000000016EC0: 7E624131
	s_waitcnt lgkmcnt(0)                                       // 000000016EC4: BF8CC07F
	s_barrier                                                  // 000000016EC8: BF8A0000
	ds_read_b32 v64, v7 offset:20992                           // 000000016ECC: D86C5200 40000007
	ds_read_b32 v65, v7 offset:21056                           // 000000016ED4: D86C5240 41000007
	ds_read_b32 v66, v7 offset:21120                           // 000000016EDC: D86C5280 42000007
	ds_read_b32 v67, v7 offset:21184                           // 000000016EE4: D86C52C0 43000007
	ds_read_b32 v68, v7 offset:21248                           // 000000016EEC: D86C5300 44000007
	ds_read_b32 v69, v7 offset:21312                           // 000000016EF4: D86C5340 45000007
	ds_read_b32 v70, v7 offset:21376                           // 000000016EFC: D86C5380 46000007
	ds_read_b32 v71, v7 offset:21440                           // 000000016F04: D86C53C0 47000007
	ds_read_b32 v72, v7 offset:21504                           // 000000016F0C: D86C5400 48000007
	ds_read_b32 v73, v7 offset:21568                           // 000000016F14: D86C5440 49000007
	ds_read_b32 v74, v7 offset:21632                           // 000000016F1C: D86C5480 4A000007
	ds_read_b32 v75, v7 offset:21696                           // 000000016F24: D86C54C0 4B000007
	ds_read_b32 v76, v7 offset:21760                           // 000000016F2C: D86C5500 4C000007
	ds_read_b32 v77, v7 offset:21824                           // 000000016F34: D86C5540 4D000007
	ds_read_b32 v78, v7 offset:21888                           // 000000016F3C: D86C5580 4E000007
	ds_read_b32 v79, v7 offset:21952                           // 000000016F44: D86C55C0 4F000007
	v_mul_f32_e32 v38, v49, v38                                // 000000016F4C: 0A4C4D31
	v_mov_b32_e32 v15, v112                                    // 000000016F50: 7E1E0370
	v_add_f32_e32 v15, v113, v15                               // 000000016F54: 021E1F71
	v_add_f32_e32 v15, v114, v15                               // 000000016F58: 021E1F72
	v_add_f32_e32 v15, v115, v15                               // 000000016F5C: 021E1F73
	v_add_f32_e32 v15, v116, v15                               // 000000016F60: 021E1F74
	v_add_f32_e32 v15, v117, v15                               // 000000016F64: 021E1F75
	v_add_f32_e32 v15, v118, v15                               // 000000016F68: 021E1F76
	v_add_f32_e32 v15, v119, v15                               // 000000016F6C: 021E1F77
	v_add_f32_e32 v15, v120, v15                               // 000000016F70: 021E1F78
	v_add_f32_e32 v15, v121, v15                               // 000000016F74: 021E1F79
	v_add_f32_e32 v15, v122, v15                               // 000000016F78: 021E1F7A
	v_add_f32_e32 v15, v123, v15                               // 000000016F7C: 021E1F7B
	v_add_f32_e32 v15, v124, v15                               // 000000016F80: 021E1F7C
	v_add_f32_e32 v15, v125, v15                               // 000000016F84: 021E1F7D
	v_add_f32_e32 v15, v126, v15                               // 000000016F88: 021E1F7E
	v_add_f32_e32 v15, v127, v15                               // 000000016F8C: 021E1F7F
	v_add_f32_e32 v38, v15, v38                                // 000000016F90: 024C4D0F
	s_waitcnt lgkmcnt(0)                                       // 000000016F94: BF8CC07F
	v_max3_f32 v48, |v64|, |v65|, v48                          // 000000016F98: D1D30330 04C28340
	v_max3_f32 v48, |v66|, |v67|, v48                          // 000000016FA0: D1D30330 04C28742
	v_max3_f32 v48, |v68|, |v69|, v48                          // 000000016FA8: D1D30330 04C28B44
	v_max3_f32 v48, |v70|, |v71|, v48                          // 000000016FB0: D1D30330 04C28F46
	v_max3_f32 v48, |v72|, |v73|, v48                          // 000000016FB8: D1D30330 04C29348
	v_max3_f32 v48, |v74|, |v75|, v48                          // 000000016FC0: D1D30330 04C2974A
	v_max3_f32 v48, |v76|, |v77|, v48                          // 000000016FC8: D1D30330 04C29B4C
	v_max3_f32 v48, |v78|, |v79|, v48                          // 000000016FD0: D1D30330 04C29F4E
	s_nop 2                                                    // 000000016FD8: BF800002
	v_rcp_f32_e32 v48, v48                                     // 000000016FDC: 7E604530
	s_nop 1                                                    // 000000016FE0: BF800001
	v_mul_f32_e32 v48, 0x43e00000, v48                         // 000000016FE4: 0A6060FF 43E00000
	v_mul_f32_e32 v112, v48, v240                              // 000000016FEC: 0AE1E130
	v_mul_f32_e32 v113, v48, v241                              // 000000016FF0: 0AE3E330
	v_mul_f32_e32 v114, v48, v242                              // 000000016FF4: 0AE5E530
	v_mul_f32_e32 v115, v48, v243                              // 000000016FF8: 0AE7E730
	v_mul_f32_e32 v116, v48, v244                              // 000000016FFC: 0AE9E930
	v_mul_f32_e32 v117, v48, v245                              // 000000017000: 0AEBEB30
	v_mul_f32_e32 v118, v48, v246                              // 000000017004: 0AEDED30
	v_mul_f32_e32 v119, v48, v247                              // 000000017008: 0AEFEF30
	v_mul_f32_e32 v120, v48, v248                              // 00000001700C: 0AF1F130
	v_mul_f32_e32 v121, v48, v249                              // 000000017010: 0AF3F330
	v_mul_f32_e32 v122, v48, v250                              // 000000017014: 0AF5F530
	v_mul_f32_e32 v123, v48, v251                              // 000000017018: 0AF7F730
	v_mul_f32_e32 v124, v48, v252                              // 00000001701C: 0AF9F930
	v_mul_f32_e32 v125, v48, v253                              // 000000017020: 0AFBFB30
	v_mul_f32_e32 v126, v48, v254                              // 000000017024: 0AFDFD30
	v_mul_f32_e32 v127, v48, v255                              // 000000017028: 0AFFFF30
	v_cvt_pk_fp8_f32 v112, v112, v113                          // 00000001702C: D2A20070 0002E370
	v_cvt_pk_fp8_f32 v112, v114, v115 op_sel:[0,0,1]           // 000000017034: D2A24070 0002E772
	v_cvt_pk_fp8_f32 v113, v116, v117                          // 00000001703C: D2A20071 0002EB74
	v_cvt_pk_fp8_f32 v113, v118, v119 op_sel:[0,0,1]           // 000000017044: D2A24071 0002EF76
	v_cvt_pk_fp8_f32 v114, v120, v121                          // 00000001704C: D2A20072 0002F378
	v_cvt_pk_fp8_f32 v114, v122, v123 op_sel:[0,0,1]           // 000000017054: D2A24072 0002F77A
	v_cvt_pk_fp8_f32 v115, v124, v125                          // 00000001705C: D2A20073 0002FB7C
	v_cvt_pk_fp8_f32 v115, v126, v127 op_sel:[0,0,1]           // 000000017064: D2A24073 0002FF7E
	ds_write_b32 v10, v112 offset:25088                        // 00000001706C: D81A6200 0000700A
	ds_write_b32 v10, v113 offset:26112                        // 000000017074: D81A6600 0000710A
	ds_write_b32 v10, v114 offset:27136                        // 00000001707C: D81A6A00 0000720A
	ds_write_b32 v10, v115 offset:28160                        // 000000017084: D81A6E00 0000730A
	v_add_f32_e32 v208, v208, v176                             // 00000001708C: 03A161D0
	v_add_f32_e32 v209, v209, v177                             // 000000017090: 03A363D1
	v_add_f32_e32 v210, v210, v178                             // 000000017094: 03A565D2
	v_add_f32_e32 v211, v211, v179                             // 000000017098: 03A767D3
	v_add_f32_e32 v212, v212, v180                             // 00000001709C: 03A969D4
	v_add_f32_e32 v213, v213, v181                             // 0000000170A0: 03AB6BD5
	v_add_f32_e32 v214, v214, v182                             // 0000000170A4: 03AD6DD6
	v_add_f32_e32 v215, v215, v183                             // 0000000170A8: 03AF6FD7
	v_rcp_f32_e32 v44, v48                                     // 0000000170AC: 7E584530
	s_waitcnt lgkmcnt(0)                                       // 0000000170B0: BF8CC07F
	s_barrier                                                  // 0000000170B4: BF8A0000
	ds_read_b64 v[112:113], v9 offset:25088                    // 0000000170B8: D8EC6200 70000009
	ds_read_b64 v[114:115], v9 offset:25216                    // 0000000170C0: D8EC6280 72000009
	ds_read_b64 v[116:117], v9 offset:26112                    // 0000000170C8: D8EC6600 74000009
	ds_read_b64 v[118:119], v9 offset:26240                    // 0000000170D0: D8EC6680 76000009
	ds_read_b64 v[120:121], v9 offset:27136                    // 0000000170D8: D8EC6A00 78000009
	ds_read_b64 v[122:123], v9 offset:27264                    // 0000000170E0: D8EC6A80 7A000009
	ds_read_b64 v[124:125], v9 offset:28160                    // 0000000170E8: D8EC6E00 7C000009
	ds_read_b64 v[126:127], v9 offset:28288                    // 0000000170F0: D8EC6E80 7E000009
	v_mov_b32_dpp v64, v43 row_shr:4 row_mask:0xf bank_mask:0xf// 0000000170F8: 7E8002FA FF01142B
	v_mov_b32_dpp v65, v43 row_shl:4 row_mask:0xf bank_mask:0xf// 000000017100: 7E8202FA FF01042B
	v_cndmask_b32_e64 v248, v43, v64, s[44:45]                 // 000000017108: D10000F8 00B2812B
	v_cndmask_b32_e64 v249, v65, v43, s[44:45]                 // 000000017110: D10000F9 00B25741
	v_mov_b32_dpp v64, v248 row_shr:8 row_mask:0xf bank_mask:0xf// 000000017118: 7E8002FA FF0118F8
	v_mov_b32_dpp v65, v248 row_shl:8 row_mask:0xf bank_mask:0xf// 000000017120: 7E8202FA FF0108F8
	v_mov_b32_dpp v66, v249 row_shr:8 row_mask:0xf bank_mask:0xf// 000000017128: 7E8402FA FF0118F9
	v_mov_b32_dpp v67, v249 row_shl:8 row_mask:0xf bank_mask:0xf// 000000017130: 7E8602FA FF0108F9
	v_mov_b32_e32 v68, v248                                    // 000000017138: 7E8803F8
	v_mov_b32_e32 v69, v249                                    // 00000001713C: 7E8A03F9
	v_cndmask_b32_e64 v248, v68, v64, s[42:43]                 // 000000017140: D10000F8 00AA8144
	v_cndmask_b32_e64 v250, v68, v65, s[78:79]                 // 000000017148: D10000FA 013A8344
	v_cndmask_b32_e64 v249, v69, v66, s[42:43]                 // 000000017150: D10000F9 00AA8545
	v_cndmask_b32_e64 v251, v69, v67, s[78:79]                 // 000000017158: D10000FB 013A8745
	v_mov_b32_dpp v64, v58 row_shr:4 row_mask:0xf bank_mask:0xf// 000000017160: 7E8002FA FF01143A
	v_mov_b32_dpp v65, v58 row_shl:4 row_mask:0xf bank_mask:0xf// 000000017168: 7E8202FA FF01043A
	v_cndmask_b32_e64 v252, v58, v64, s[44:45]                 // 000000017170: D10000FC 00B2813A
	v_cndmask_b32_e64 v253, v65, v58, s[44:45]                 // 000000017178: D10000FD 00B27541
	v_mov_b32_dpp v64, v252 row_shr:8 row_mask:0xf bank_mask:0xf// 000000017180: 7E8002FA FF0118FC
	v_mov_b32_dpp v65, v252 row_shl:8 row_mask:0xf bank_mask:0xf// 000000017188: 7E8202FA FF0108FC
	v_mov_b32_dpp v66, v253 row_shr:8 row_mask:0xf bank_mask:0xf// 000000017190: 7E8402FA FF0118FD
	v_mov_b32_dpp v67, v253 row_shl:8 row_mask:0xf bank_mask:0xf// 000000017198: 7E8602FA FF0108FD
	v_mov_b32_e32 v68, v252                                    // 0000000171A0: 7E8803FC
	v_mov_b32_e32 v69, v253                                    // 0000000171A4: 7E8A03FD
	v_cndmask_b32_e64 v252, v68, v64, s[42:43]                 // 0000000171A8: D10000FC 00AA8144
	v_cndmask_b32_e64 v254, v68, v65, s[78:79]                 // 0000000171B0: D10000FE 013A8344
	v_cndmask_b32_e64 v253, v69, v66, s[42:43]                 // 0000000171B8: D10000FD 00AA8545
	v_cndmask_b32_e64 v255, v69, v67, s[78:79]                 // 0000000171C0: D10000FF 013A8745
	v_mul_f32_e32 v128, v19, v128                              // 0000000171C8: 0B010113
	v_mul_f32_e32 v129, v19, v129                              // 0000000171CC: 0B030313
	v_mul_f32_e32 v130, v19, v130                              // 0000000171D0: 0B050513
	v_mul_f32_e32 v131, v19, v131                              // 0000000171D4: 0B070713
	v_mul_f32_e32 v132, v19, v132                              // 0000000171D8: 0B090913
	v_mul_f32_e32 v133, v19, v133                              // 0000000171DC: 0B0B0B13
	v_mul_f32_e32 v134, v19, v134                              // 0000000171E0: 0B0D0D13
	v_mul_f32_e32 v135, v19, v135                              // 0000000171E4: 0B0F0F13
	v_mul_f32_e32 v136, v19, v136                              // 0000000171E8: 0B111113
	v_mul_f32_e32 v137, v19, v137                              // 0000000171EC: 0B131313
	v_mul_f32_e32 v138, v19, v138                              // 0000000171F0: 0B151513
	v_mul_f32_e32 v139, v19, v139                              // 0000000171F4: 0B171713
	v_mul_f32_e32 v140, v19, v140                              // 0000000171F8: 0B191913
	v_mul_f32_e32 v141, v19, v141                              // 0000000171FC: 0B1B1B13
	v_mul_f32_e32 v142, v19, v142                              // 000000017200: 0B1D1D13
	v_mul_f32_e32 v143, v19, v143                              // 000000017204: 0B1F1F13
	v_mul_f32_dpp v128, v248, v128 quad_perm:[0,0,0,0] row_mask:0xf bank_mask:0xf// 000000017208: 0B0100FA FF0000F8
	v_mul_f32_dpp v129, v248, v129 quad_perm:[1,1,1,1] row_mask:0xf bank_mask:0xf// 000000017210: 0B0302FA FF0055F8
	v_mul_f32_dpp v130, v248, v130 quad_perm:[2,2,2,2] row_mask:0xf bank_mask:0xf// 000000017218: 0B0504FA FF00AAF8
	v_mul_f32_dpp v131, v248, v131 quad_perm:[3,3,3,3] row_mask:0xf bank_mask:0xf// 000000017220: 0B0706FA FF00FFF8
	v_mul_f32_dpp v132, v249, v132 quad_perm:[0,0,0,0] row_mask:0xf bank_mask:0xf// 000000017228: 0B0908FA FF0000F9
	v_mul_f32_dpp v133, v249, v133 quad_perm:[1,1,1,1] row_mask:0xf bank_mask:0xf// 000000017230: 0B0B0AFA FF0055F9
	v_mul_f32_dpp v134, v249, v134 quad_perm:[2,2,2,2] row_mask:0xf bank_mask:0xf// 000000017238: 0B0D0CFA FF00AAF9
	v_mul_f32_dpp v135, v249, v135 quad_perm:[3,3,3,3] row_mask:0xf bank_mask:0xf// 000000017240: 0B0F0EFA FF00FFF9
	v_mul_f32_dpp v136, v250, v136 quad_perm:[0,0,0,0] row_mask:0xf bank_mask:0xf// 000000017248: 0B1110FA FF0000FA
	v_mul_f32_dpp v137, v250, v137 quad_perm:[1,1,1,1] row_mask:0xf bank_mask:0xf// 000000017250: 0B1312FA FF0055FA
	v_mul_f32_dpp v138, v250, v138 quad_perm:[2,2,2,2] row_mask:0xf bank_mask:0xf// 000000017258: 0B1514FA FF00AAFA
	v_mul_f32_dpp v139, v250, v139 quad_perm:[3,3,3,3] row_mask:0xf bank_mask:0xf// 000000017260: 0B1716FA FF00FFFA
	v_mul_f32_dpp v140, v251, v140 quad_perm:[0,0,0,0] row_mask:0xf bank_mask:0xf// 000000017268: 0B1918FA FF0000FB
	v_mul_f32_dpp v141, v251, v141 quad_perm:[1,1,1,1] row_mask:0xf bank_mask:0xf// 000000017270: 0B1B1AFA FF0055FB
	v_mul_f32_dpp v142, v251, v142 quad_perm:[2,2,2,2] row_mask:0xf bank_mask:0xf// 000000017278: 0B1D1CFA FF00AAFB
	v_mul_f32_dpp v143, v251, v143 quad_perm:[3,3,3,3] row_mask:0xf bank_mask:0xf// 000000017280: 0B1F1EFA FF00FFFB
	s_cmp_le_i32 s90, s89                                      // 000000017288: BF05595A
	s_cbranch_scc1 label_5495                                  // 00000001728C: BF850071
	v_mov_b32_e32 v66, 0xff800000                              // 000000017290: 7E8402FF FF800000
	s_mov_b32 s60, s90                                         // 000000017298: BEBC005A
	s_add_u32 s61, s89, 0xff                                   // 00000001729C: 803DFF59 000000FF
	v_mov_b32_e32 v64, s61                                     // 0000000172A4: 7E80023D
	v_lshrrev_b32_e32 v240, 4, v0                              // 0000000172A8: 21E00084
	v_mul_i32_i24_e32 v240, 4, v240                            // 0000000172AC: 0DE1E084
	v_add_u32_e32 v240, s60, v240                              // 0000000172B0: 69E1E03C
	s_mov_b32 s61, 1                                           // 0000000172B4: BEBD0081
	s_mul_i32 s60, 16, s7                                      // 0000000172B8: 923C0790
	v_sub_u32_e64 v240, v240, s61                              // 0000000172BC: D13500F0 00007BF0
	v_add_u32_e32 v240, s60, v240                              // 0000000172C4: 69E1E03C
	v_add_u32_e32 v241, 1, v240                                // 0000000172C8: 69E3E081
	v_add_u32_e32 v242, 2, v240                                // 0000000172CC: 69E5E082
	v_add_u32_e32 v243, 3, v240                                // 0000000172D0: 69E7E083
	v_cmp_le_u32_e64 s[40:41], v240, v64                       // 0000000172D4: D0CB0028 000281F0
	v_add_u32_e32 v240, 64, v240                               // 0000000172DC: 69E1E0C0
	s_nop 0                                                    // 0000000172E0: BF800000
	v_cndmask_b32_e64 v128, v66, v128, s[40:41]                // 0000000172E4: D1000080 00A30142
	v_cmp_le_u32_e64 s[40:41], v241, v64                       // 0000000172EC: D0CB0028 000281F1
	v_add_u32_e32 v241, 64, v241                               // 0000000172F4: 69E3E2C0
	s_nop 0                                                    // 0000000172F8: BF800000
	v_cndmask_b32_e64 v129, v66, v129, s[40:41]                // 0000000172FC: D1000081 00A30342
	v_cmp_le_u32_e64 s[40:41], v242, v64                       // 000000017304: D0CB0028 000281F2
	v_add_u32_e32 v242, 64, v242                               // 00000001730C: 69E5E4C0
	s_nop 0                                                    // 000000017310: BF800000
	v_cndmask_b32_e64 v130, v66, v130, s[40:41]                // 000000017314: D1000082 00A30542
	v_cmp_le_u32_e64 s[40:41], v243, v64                       // 00000001731C: D0CB0028 000281F3
	v_add_u32_e32 v243, 64, v243                               // 000000017324: 69E7E6C0
	s_nop 0                                                    // 000000017328: BF800000
	v_cndmask_b32_e64 v131, v66, v131, s[40:41]                // 00000001732C: D1000083 00A30742
	v_cmp_le_u32_e64 s[40:41], v240, v64                       // 000000017334: D0CB0028 000281F0
	v_add_u32_e32 v240, 64, v240                               // 00000001733C: 69E1E0C0
	s_nop 0                                                    // 000000017340: BF800000
	v_cndmask_b32_e64 v132, v66, v132, s[40:41]                // 000000017344: D1000084 00A30942
	v_cmp_le_u32_e64 s[40:41], v241, v64                       // 00000001734C: D0CB0028 000281F1
	v_add_u32_e32 v241, 64, v241                               // 000000017354: 69E3E2C0
	s_nop 0                                                    // 000000017358: BF800000
	v_cndmask_b32_e64 v133, v66, v133, s[40:41]                // 00000001735C: D1000085 00A30B42
	v_cmp_le_u32_e64 s[40:41], v242, v64                       // 000000017364: D0CB0028 000281F2
	v_add_u32_e32 v242, 64, v242                               // 00000001736C: 69E5E4C0
	s_nop 0                                                    // 000000017370: BF800000
	v_cndmask_b32_e64 v134, v66, v134, s[40:41]                // 000000017374: D1000086 00A30D42
	v_cmp_le_u32_e64 s[40:41], v243, v64                       // 00000001737C: D0CB0028 000281F3
	v_add_u32_e32 v243, 64, v243                               // 000000017384: 69E7E6C0
	s_nop 0                                                    // 000000017388: BF800000
	v_cndmask_b32_e64 v135, v66, v135, s[40:41]                // 00000001738C: D1000087 00A30F42
	v_cmp_le_u32_e64 s[40:41], v240, v64                       // 000000017394: D0CB0028 000281F0
	v_add_u32_e32 v240, 64, v240                               // 00000001739C: 69E1E0C0
	s_nop 0                                                    // 0000000173A0: BF800000
	v_cndmask_b32_e64 v136, v66, v136, s[40:41]                // 0000000173A4: D1000088 00A31142
	v_cmp_le_u32_e64 s[40:41], v241, v64                       // 0000000173AC: D0CB0028 000281F1
	v_add_u32_e32 v241, 64, v241                               // 0000000173B4: 69E3E2C0
	s_nop 0                                                    // 0000000173B8: BF800000
	v_cndmask_b32_e64 v137, v66, v137, s[40:41]                // 0000000173BC: D1000089 00A31342
	v_cmp_le_u32_e64 s[40:41], v242, v64                       // 0000000173C4: D0CB0028 000281F2
	v_add_u32_e32 v242, 64, v242                               // 0000000173CC: 69E5E4C0
	s_nop 0                                                    // 0000000173D0: BF800000
	v_cndmask_b32_e64 v138, v66, v138, s[40:41]                // 0000000173D4: D100008A 00A31542
	v_cmp_le_u32_e64 s[40:41], v243, v64                       // 0000000173DC: D0CB0028 000281F3
	v_add_u32_e32 v243, 64, v243                               // 0000000173E4: 69E7E6C0
	s_nop 0                                                    // 0000000173E8: BF800000
	v_cndmask_b32_e64 v139, v66, v139, s[40:41]                // 0000000173EC: D100008B 00A31742
	v_cmp_le_u32_e64 s[40:41], v240, v64                       // 0000000173F4: D0CB0028 000281F0
	v_add_u32_e32 v240, 64, v240                               // 0000000173FC: 69E1E0C0
	s_nop 0                                                    // 000000017400: BF800000
	v_cndmask_b32_e64 v140, v66, v140, s[40:41]                // 000000017404: D100008C 00A31942
	v_cmp_le_u32_e64 s[40:41], v241, v64                       // 00000001740C: D0CB0028 000281F1
	v_add_u32_e32 v241, 64, v241                               // 000000017414: 69E3E2C0
	s_nop 0                                                    // 000000017418: BF800000
	v_cndmask_b32_e64 v141, v66, v141, s[40:41]                // 00000001741C: D100008D 00A31B42
	v_cmp_le_u32_e64 s[40:41], v242, v64                       // 000000017424: D0CB0028 000281F2
	v_add_u32_e32 v242, 64, v242                               // 00000001742C: 69E5E4C0
	s_nop 0                                                    // 000000017430: BF800000
	v_cndmask_b32_e64 v142, v66, v142, s[40:41]                // 000000017434: D100008E 00A31D42
	v_cmp_le_u32_e64 s[40:41], v243, v64                       // 00000001743C: D0CB0028 000281F3
	v_add_u32_e32 v243, 64, v243                               // 000000017444: 69E7E6C0
	s_nop 0                                                    // 000000017448: BF800000
	v_cndmask_b32_e64 v143, v66, v143, s[40:41]                // 00000001744C: D100008F 00A31F42

0000000000017454 <label_5495>:
	v_mov_b32_e32 v48, v128                                    // 000000017454: 7E600380
	v_max3_f32 v48, v128, v129, v48                            // 000000017458: D1D30030 04C30380
	v_max3_f32 v48, v130, v131, v48                            // 000000017460: D1D30030 04C30782
	v_max3_f32 v48, v132, v133, v48                            // 000000017468: D1D30030 04C30B84
	v_max3_f32 v48, v134, v135, v48                            // 000000017470: D1D30030 04C30F86
	v_max3_f32 v48, v136, v137, v48                            // 000000017478: D1D30030 04C31388
	v_max3_f32 v48, v138, v139, v48                            // 000000017480: D1D30030 04C3178A
	v_max3_f32 v48, v140, v141, v48                            // 000000017488: D1D30030 04C31B8C
	v_max3_f32 v48, v142, v143, v48                            // 000000017490: D1D30030 04C31F8E
	ds_write_b32 v8, v48 offset:16896                          // 000000017498: D81A4200 00003008
	v_mul_f32_e32 v216, v50, v216                              // 0000000174A0: 0BB1B132
	v_mul_f32_e32 v217, v50, v217                              // 0000000174A4: 0BB3B332
	v_mul_f32_e32 v218, v50, v218                              // 0000000174A8: 0BB5B532
	v_mul_f32_e32 v219, v50, v219                              // 0000000174AC: 0BB7B732
	v_mul_f32_e32 v220, v50, v220                              // 0000000174B0: 0BB9B932
	v_mul_f32_e32 v221, v50, v221                              // 0000000174B4: 0BBBBB32
	v_mul_f32_e32 v222, v50, v222                              // 0000000174B8: 0BBDBD32
	v_mul_f32_e32 v223, v50, v223                              // 0000000174BC: 0BBFBF32
	s_waitcnt lgkmcnt(0)                                       // 0000000174C0: BF8CC07F
	s_barrier                                                  // 0000000174C4: BF8A0000
	ds_read_b32 v64, v7 offset:16896                           // 0000000174C8: D86C4200 40000007
	ds_read_b32 v65, v7 offset:16960                           // 0000000174D0: D86C4240 41000007
	ds_read_b32 v66, v7 offset:17024                           // 0000000174D8: D86C4280 42000007
	ds_read_b32 v67, v7 offset:17088                           // 0000000174E0: D86C42C0 43000007
	ds_read_b32 v68, v7 offset:17152                           // 0000000174E8: D86C4300 44000007
	ds_read_b32 v69, v7 offset:17216                           // 0000000174F0: D86C4340 45000007
	ds_read_b32 v70, v7 offset:17280                           // 0000000174F8: D86C4380 46000007
	ds_read_b32 v71, v7 offset:17344                           // 000000017500: D86C43C0 47000007
	ds_read_b32 v72, v7 offset:17408                           // 000000017508: D86C4400 48000007
	ds_read_b32 v73, v7 offset:17472                           // 000000017510: D86C4440 49000007
	ds_read_b32 v74, v7 offset:17536                           // 000000017518: D86C4480 4A000007
	ds_read_b32 v75, v7 offset:17600                           // 000000017520: D86C44C0 4B000007
	ds_read_b32 v76, v7 offset:17664                           // 000000017528: D86C4500 4C000007
	ds_read_b32 v77, v7 offset:17728                           // 000000017530: D86C4540 4D000007
	ds_read_b32 v78, v7 offset:17792                           // 000000017538: D86C4580 4E000007
	ds_read_b32 v79, v7 offset:17856                           // 000000017540: D86C45C0 4F000007
	v_mul_f32_e32 v184, v45, v184                              // 000000017548: 0B71712D
	v_mul_f32_e32 v185, v45, v185                              // 00000001754C: 0B73732D
	v_mul_f32_e32 v186, v45, v186                              // 000000017550: 0B75752D
	v_mul_f32_e32 v187, v45, v187                              // 000000017554: 0B77772D
	v_mul_f32_e32 v188, v45, v188                              // 000000017558: 0B79792D
	v_mul_f32_e32 v189, v45, v189                              // 00000001755C: 0B7B7B2D
	v_mul_f32_e32 v190, v45, v190                              // 000000017560: 0B7D7D2D
	v_mul_f32_e32 v191, v45, v191                              // 000000017564: 0B7F7F2D
	s_waitcnt lgkmcnt(0)                                       // 000000017568: BF8CC07F
	v_max3_f32 v48, v64, v65, v48                              // 00000001756C: D1D30030 04C28340
	v_max3_f32 v48, v66, v67, v48                              // 000000017574: D1D30030 04C28742
	v_max3_f32 v48, v68, v69, v48                              // 00000001757C: D1D30030 04C28B44
	v_max3_f32 v48, v70, v71, v48                              // 000000017584: D1D30030 04C28F46
	v_max3_f32 v48, v72, v73, v48                              // 00000001758C: D1D30030 04C29348
	v_max3_f32 v48, v74, v75, v48                              // 000000017594: D1D30030 04C2974A
	v_max3_f32 v48, v76, v77, v48                              // 00000001759C: D1D30030 04C29B4C
	v_max3_f32 v48, v78, v79, v48                              // 0000000175A4: D1D30030 04C29F4E
	v_mov_b32_e32 v64, 0xff800000                              // 0000000175AC: 7E8002FF FF800000
	v_cmp_eq_u32_e64 s[40:41], v64, v12                        // 0000000175B4: D0CA0028 00021940
	s_nop 1                                                    // 0000000175BC: BF800001
	v_max_f32_e32 v15, v48, v12                                // 0000000175C0: 161E1930
	v_mul_f32_e32 v53, s64, v15                                // 0000000175C4: 0A6A1E40
	v_fma_f32 v128, v128, s64, -v53                            // 0000000175C8: D1CB0080 84D48180
	v_fma_f32 v129, v129, s64, -v53                            // 0000000175D0: D1CB0081 84D48181
	v_fma_f32 v130, v130, s64, -v53                            // 0000000175D8: D1CB0082 84D48182
	v_fma_f32 v131, v131, s64, -v53                            // 0000000175E0: D1CB0083 84D48183
	v_fma_f32 v132, v132, s64, -v53                            // 0000000175E8: D1CB0084 84D48184
	v_fma_f32 v133, v133, s64, -v53                            // 0000000175F0: D1CB0085 84D48185
	v_fma_f32 v134, v134, s64, -v53                            // 0000000175F8: D1CB0086 84D48186
	v_fma_f32 v135, v135, s64, -v53                            // 000000017600: D1CB0087 84D48187
	v_fma_f32 v136, v136, s64, -v53                            // 000000017608: D1CB0088 84D48188
	v_fma_f32 v137, v137, s64, -v53                            // 000000017610: D1CB0089 84D48189
	v_fma_f32 v138, v138, s64, -v53                            // 000000017618: D1CB008A 84D4818A
	v_fma_f32 v139, v139, s64, -v53                            // 000000017620: D1CB008B 84D4818B
	v_fma_f32 v140, v140, s64, -v53                            // 000000017628: D1CB008C 84D4818C
	v_fma_f32 v141, v141, s64, -v53                            // 000000017630: D1CB008D 84D4818D
	v_fma_f32 v142, v142, s64, -v53                            // 000000017638: D1CB008E 84D4818E
	v_fma_f32 v143, v143, s64, -v53                            // 000000017640: D1CB008F 84D4818F
	v_exp_f32_e32 v128, v128                                   // 000000017648: 7F004180
	v_exp_f32_e32 v129, v129                                   // 00000001764C: 7F024181
	v_exp_f32_e32 v130, v130                                   // 000000017650: 7F044182
	v_exp_f32_e32 v131, v131                                   // 000000017654: 7F064183
	v_exp_f32_e32 v132, v132                                   // 000000017658: 7F084184
	v_exp_f32_e32 v133, v133                                   // 00000001765C: 7F0A4185
	v_exp_f32_e32 v134, v134                                   // 000000017660: 7F0C4186
	v_exp_f32_e32 v135, v135                                   // 000000017664: 7F0E4187
	v_exp_f32_e32 v136, v136                                   // 000000017668: 7F104188
	v_exp_f32_e32 v137, v137                                   // 00000001766C: 7F124189
	v_exp_f32_e32 v138, v138                                   // 000000017670: 7F14418A
	v_exp_f32_e32 v139, v139                                   // 000000017674: 7F16418B
	v_exp_f32_e32 v140, v140                                   // 000000017678: 7F18418C
	v_exp_f32_e32 v141, v141                                   // 00000001767C: 7F1A418D
	v_exp_f32_e32 v142, v142                                   // 000000017680: 7F1C418E
	v_exp_f32_e32 v143, v143                                   // 000000017684: 7F1E418F
	v_mul_f32_dpp v240, v252, v128 quad_perm:[0,0,0,0] row_mask:0xf bank_mask:0xf// 000000017688: 0BE100FA FF0000FC
	v_mul_f32_dpp v241, v252, v129 quad_perm:[1,1,1,1] row_mask:0xf bank_mask:0xf// 000000017690: 0BE302FA FF0055FC
	v_mul_f32_dpp v242, v252, v130 quad_perm:[2,2,2,2] row_mask:0xf bank_mask:0xf// 000000017698: 0BE504FA FF00AAFC
	v_mul_f32_dpp v243, v252, v131 quad_perm:[3,3,3,3] row_mask:0xf bank_mask:0xf// 0000000176A0: 0BE706FA FF00FFFC
	v_mul_f32_dpp v244, v253, v132 quad_perm:[0,0,0,0] row_mask:0xf bank_mask:0xf// 0000000176A8: 0BE908FA FF0000FD
	v_mul_f32_dpp v245, v253, v133 quad_perm:[1,1,1,1] row_mask:0xf bank_mask:0xf// 0000000176B0: 0BEB0AFA FF0055FD
	v_mul_f32_dpp v246, v253, v134 quad_perm:[2,2,2,2] row_mask:0xf bank_mask:0xf// 0000000176B8: 0BED0CFA FF00AAFD
	v_mul_f32_dpp v247, v253, v135 quad_perm:[3,3,3,3] row_mask:0xf bank_mask:0xf// 0000000176C0: 0BEF0EFA FF00FFFD
	v_mul_f32_dpp v248, v254, v136 quad_perm:[0,0,0,0] row_mask:0xf bank_mask:0xf// 0000000176C8: 0BF110FA FF0000FE
	v_mul_f32_dpp v249, v254, v137 quad_perm:[1,1,1,1] row_mask:0xf bank_mask:0xf// 0000000176D0: 0BF312FA FF0055FE
	v_mul_f32_dpp v250, v254, v138 quad_perm:[2,2,2,2] row_mask:0xf bank_mask:0xf// 0000000176D8: 0BF514FA FF00AAFE
	v_mul_f32_dpp v251, v254, v139 quad_perm:[3,3,3,3] row_mask:0xf bank_mask:0xf// 0000000176E0: 0BF716FA FF00FFFE
	v_mul_f32_dpp v252, v255, v140 quad_perm:[0,0,0,0] row_mask:0xf bank_mask:0xf// 0000000176E8: 0BF918FA FF0000FF
	v_mul_f32_dpp v253, v255, v141 quad_perm:[1,1,1,1] row_mask:0xf bank_mask:0xf// 0000000176F0: 0BFB1AFA FF0055FF
	v_mul_f32_dpp v254, v255, v142 quad_perm:[2,2,2,2] row_mask:0xf bank_mask:0xf// 0000000176F8: 0BFD1CFA FF00AAFF
	v_mul_f32_dpp v255, v255, v143 quad_perm:[3,3,3,3] row_mask:0xf bank_mask:0xf// 000000017700: 0BFF1EFA FF00FFFF
	v_mov_b32_e32 v48, 0x358637bd                              // 000000017708: 7E6002FF 358637BD
	v_max3_f32 v48, |v240|, |v241|, v48                        // 000000017710: D1D30330 04C3E3F0
	v_max3_f32 v48, |v242|, |v243|, v48                        // 000000017718: D1D30330 04C3E7F2
	v_max3_f32 v48, |v244|, |v245|, v48                        // 000000017720: D1D30330 04C3EBF4
	v_max3_f32 v48, |v246|, |v247|, v48                        // 000000017728: D1D30330 04C3EFF6
	v_max3_f32 v48, |v248|, |v249|, v48                        // 000000017730: D1D30330 04C3F3F8
	v_max3_f32 v48, |v250|, |v251|, v48                        // 000000017738: D1D30330 04C3F7FA
	v_max3_f32 v48, |v252|, |v253|, v48                        // 000000017740: D1D30330 04C3FBFC
	v_max3_f32 v48, |v254|, |v255|, v48                        // 000000017748: D1D30330 04C3FFFE
	ds_write_b32 v8, v48 offset:20992                          // 000000017750: D81A5200 00003008
	v_sub_f32_e32 v50, v12, v15                                // 000000017758: 04641F0C
	v_cndmask_b32_e64 v50, v50, 0, s[40:41]                    // 00000001775C: D1000032 00A10132
	v_mov_b32_e32 v12, v15                                     // 000000017764: 7E18030F
	v_mul_f32_e32 v50, s64, v50                                // 000000017768: 0A646440
	v_exp_f32_e32 v50, v50                                     // 00000001776C: 7E644132
	s_waitcnt lgkmcnt(0)                                       // 000000017770: BF8CC07F
	s_barrier                                                  // 000000017774: BF8A0000
	ds_read_b32 v64, v7 offset:20992                           // 000000017778: D86C5200 40000007
	ds_read_b32 v65, v7 offset:21056                           // 000000017780: D86C5240 41000007
	ds_read_b32 v66, v7 offset:21120                           // 000000017788: D86C5280 42000007
	ds_read_b32 v67, v7 offset:21184                           // 000000017790: D86C52C0 43000007
	ds_read_b32 v68, v7 offset:21248                           // 000000017798: D86C5300 44000007
	ds_read_b32 v69, v7 offset:21312                           // 0000000177A0: D86C5340 45000007
	ds_read_b32 v70, v7 offset:21376                           // 0000000177A8: D86C5380 46000007
	ds_read_b32 v71, v7 offset:21440                           // 0000000177B0: D86C53C0 47000007
	ds_read_b32 v72, v7 offset:21504                           // 0000000177B8: D86C5400 48000007
	ds_read_b32 v73, v7 offset:21568                           // 0000000177C0: D86C5440 49000007
	ds_read_b32 v74, v7 offset:21632                           // 0000000177C8: D86C5480 4A000007
	ds_read_b32 v75, v7 offset:21696                           // 0000000177D0: D86C54C0 4B000007
	ds_read_b32 v76, v7 offset:21760                           // 0000000177D8: D86C5500 4C000007
	ds_read_b32 v77, v7 offset:21824                           // 0000000177E0: D86C5540 4D000007
	ds_read_b32 v78, v7 offset:21888                           // 0000000177E8: D86C5580 4E000007
	ds_read_b32 v79, v7 offset:21952                           // 0000000177F0: D86C55C0 4F000007
	v_mul_f32_e32 v39, v50, v39                                // 0000000177F8: 0A4E4F32
	v_mov_b32_e32 v15, v128                                    // 0000000177FC: 7E1E0380
	v_add_f32_e32 v15, v129, v15                               // 000000017800: 021E1F81
	v_add_f32_e32 v15, v130, v15                               // 000000017804: 021E1F82
	v_add_f32_e32 v15, v131, v15                               // 000000017808: 021E1F83
	v_add_f32_e32 v15, v132, v15                               // 00000001780C: 021E1F84
	v_add_f32_e32 v15, v133, v15                               // 000000017810: 021E1F85
	v_add_f32_e32 v15, v134, v15                               // 000000017814: 021E1F86
	v_add_f32_e32 v15, v135, v15                               // 000000017818: 021E1F87
	v_add_f32_e32 v15, v136, v15                               // 00000001781C: 021E1F88
	v_add_f32_e32 v15, v137, v15                               // 000000017820: 021E1F89
	v_add_f32_e32 v15, v138, v15                               // 000000017824: 021E1F8A
	v_add_f32_e32 v15, v139, v15                               // 000000017828: 021E1F8B
	v_add_f32_e32 v15, v140, v15                               // 00000001782C: 021E1F8C
	v_add_f32_e32 v15, v141, v15                               // 000000017830: 021E1F8D
	v_add_f32_e32 v15, v142, v15                               // 000000017834: 021E1F8E
	v_add_f32_e32 v15, v143, v15                               // 000000017838: 021E1F8F
	v_add_f32_e32 v39, v15, v39                                // 00000001783C: 024E4F0F
	s_waitcnt lgkmcnt(0)                                       // 000000017840: BF8CC07F
	v_max3_f32 v48, |v64|, |v65|, v48                          // 000000017844: D1D30330 04C28340
	v_max3_f32 v48, |v66|, |v67|, v48                          // 00000001784C: D1D30330 04C28742
	v_max3_f32 v48, |v68|, |v69|, v48                          // 000000017854: D1D30330 04C28B44
	v_max3_f32 v48, |v70|, |v71|, v48                          // 00000001785C: D1D30330 04C28F46
	v_max3_f32 v48, |v72|, |v73|, v48                          // 000000017864: D1D30330 04C29348
	v_max3_f32 v48, |v74|, |v75|, v48                          // 00000001786C: D1D30330 04C2974A
	v_max3_f32 v48, |v76|, |v77|, v48                          // 000000017874: D1D30330 04C29B4C
	v_max3_f32 v48, |v78|, |v79|, v48                          // 00000001787C: D1D30330 04C29F4E
	s_nop 2                                                    // 000000017884: BF800002
	v_rcp_f32_e32 v48, v48                                     // 000000017888: 7E604530
	s_nop 1                                                    // 00000001788C: BF800001
	v_mul_f32_e32 v48, 0x43e00000, v48                         // 000000017890: 0A6060FF 43E00000
	v_mul_f32_e32 v128, v48, v240                              // 000000017898: 0B01E130
	v_mul_f32_e32 v129, v48, v241                              // 00000001789C: 0B03E330
	v_mul_f32_e32 v130, v48, v242                              // 0000000178A0: 0B05E530
	v_mul_f32_e32 v131, v48, v243                              // 0000000178A4: 0B07E730
	v_mul_f32_e32 v132, v48, v244                              // 0000000178A8: 0B09E930
	v_mul_f32_e32 v133, v48, v245                              // 0000000178AC: 0B0BEB30
	v_mul_f32_e32 v134, v48, v246                              // 0000000178B0: 0B0DED30
	v_mul_f32_e32 v135, v48, v247                              // 0000000178B4: 0B0FEF30
	v_mul_f32_e32 v136, v48, v248                              // 0000000178B8: 0B11F130
	v_mul_f32_e32 v137, v48, v249                              // 0000000178BC: 0B13F330
	v_mul_f32_e32 v138, v48, v250                              // 0000000178C0: 0B15F530
	v_mul_f32_e32 v139, v48, v251                              // 0000000178C4: 0B17F730
	v_mul_f32_e32 v140, v48, v252                              // 0000000178C8: 0B19F930
	v_mul_f32_e32 v141, v48, v253                              // 0000000178CC: 0B1BFB30
	v_mul_f32_e32 v142, v48, v254                              // 0000000178D0: 0B1DFD30
	v_mul_f32_e32 v143, v48, v255                              // 0000000178D4: 0B1FFF30
	v_cvt_pk_fp8_f32 v128, v128, v129                          // 0000000178D8: D2A20080 00030380
	v_cvt_pk_fp8_f32 v128, v130, v131 op_sel:[0,0,1]           // 0000000178E0: D2A24080 00030782
	v_cvt_pk_fp8_f32 v129, v132, v133                          // 0000000178E8: D2A20081 00030B84
	v_cvt_pk_fp8_f32 v129, v134, v135 op_sel:[0,0,1]           // 0000000178F0: D2A24081 00030F86
	v_cvt_pk_fp8_f32 v130, v136, v137                          // 0000000178F8: D2A20082 00031388
	v_cvt_pk_fp8_f32 v130, v138, v139 op_sel:[0,0,1]           // 000000017900: D2A24082 0003178A
	v_cvt_pk_fp8_f32 v131, v140, v141                          // 000000017908: D2A20083 00031B8C
	v_cvt_pk_fp8_f32 v131, v142, v143 op_sel:[0,0,1]           // 000000017910: D2A24083 00031F8E
	ds_write_b32 v10, v128 offset:29184                        // 000000017918: D81A7200 0000800A
	ds_write_b32 v10, v129 offset:30208                        // 000000017920: D81A7600 0000810A
	ds_write_b32 v10, v130 offset:31232                        // 000000017928: D81A7A00 0000820A
	ds_write_b32 v10, v131 offset:32256                        // 000000017930: D81A7E00 0000830A
	v_add_f32_e32 v216, v216, v184                             // 000000017938: 03B171D8
	v_add_f32_e32 v217, v217, v185                             // 00000001793C: 03B373D9
	v_add_f32_e32 v218, v218, v186                             // 000000017940: 03B575DA
	v_add_f32_e32 v219, v219, v187                             // 000000017944: 03B777DB
	v_add_f32_e32 v220, v220, v188                             // 000000017948: 03B979DC
	v_add_f32_e32 v221, v221, v189                             // 00000001794C: 03BB7BDD
	v_add_f32_e32 v222, v222, v190                             // 000000017950: 03BD7DDE
	v_add_f32_e32 v223, v223, v191                             // 000000017954: 03BF7FDF
	v_rcp_f32_e32 v45, v48                                     // 000000017958: 7E5A4530
	s_waitcnt lgkmcnt(0)                                       // 00000001795C: BF8CC07F
	s_barrier                                                  // 000000017960: BF8A0000
	ds_read_b64 v[128:129], v9 offset:29184                    // 000000017964: D8EC7200 80000009
	ds_read_b64 v[130:131], v9 offset:29312                    // 00000001796C: D8EC7280 82000009
	ds_read_b64 v[132:133], v9 offset:30208                    // 000000017974: D8EC7600 84000009
	ds_read_b64 v[134:135], v9 offset:30336                    // 00000001797C: D8EC7680 86000009
	ds_read_b64 v[136:137], v9 offset:31232                    // 000000017984: D8EC7A00 88000009
	ds_read_b64 v[138:139], v9 offset:31360                    // 00000001798C: D8EC7A80 8A000009
	ds_read_b64 v[140:141], v9 offset:32256                    // 000000017994: D8EC7E00 8C000009
	ds_read_b64 v[142:143], v9 offset:32384                    // 00000001799C: D8EC7E80 8E000009
	v_mov_b32_dpp v64, v43 row_shr:4 row_mask:0xf bank_mask:0xf// 0000000179A4: 7E8002FA FF01142B
	v_mov_b32_dpp v65, v43 row_shl:4 row_mask:0xf bank_mask:0xf// 0000000179AC: 7E8202FA FF01042B
	v_cndmask_b32_e64 v248, v43, v64, s[44:45]                 // 0000000179B4: D10000F8 00B2812B
	v_cndmask_b32_e64 v249, v65, v43, s[44:45]                 // 0000000179BC: D10000F9 00B25741
	v_mov_b32_dpp v64, v248 row_shr:8 row_mask:0xf bank_mask:0xf// 0000000179C4: 7E8002FA FF0118F8
	v_mov_b32_dpp v65, v248 row_shl:8 row_mask:0xf bank_mask:0xf// 0000000179CC: 7E8202FA FF0108F8
	v_mov_b32_dpp v66, v249 row_shr:8 row_mask:0xf bank_mask:0xf// 0000000179D4: 7E8402FA FF0118F9
	v_mov_b32_dpp v67, v249 row_shl:8 row_mask:0xf bank_mask:0xf// 0000000179DC: 7E8602FA FF0108F9
	v_mov_b32_e32 v68, v248                                    // 0000000179E4: 7E8803F8
	v_mov_b32_e32 v69, v249                                    // 0000000179E8: 7E8A03F9
	v_cndmask_b32_e64 v248, v68, v64, s[42:43]                 // 0000000179EC: D10000F8 00AA8144
	v_cndmask_b32_e64 v250, v68, v65, s[78:79]                 // 0000000179F4: D10000FA 013A8344
	v_cndmask_b32_e64 v249, v69, v66, s[42:43]                 // 0000000179FC: D10000F9 00AA8545
	v_cndmask_b32_e64 v251, v69, v67, s[78:79]                 // 000000017A04: D10000FB 013A8745
	v_mov_b32_dpp v64, v58 row_shr:4 row_mask:0xf bank_mask:0xf// 000000017A0C: 7E8002FA FF01143A
	v_mov_b32_dpp v65, v58 row_shl:4 row_mask:0xf bank_mask:0xf// 000000017A14: 7E8202FA FF01043A
	v_cndmask_b32_e64 v252, v58, v64, s[44:45]                 // 000000017A1C: D10000FC 00B2813A
	v_cndmask_b32_e64 v253, v65, v58, s[44:45]                 // 000000017A24: D10000FD 00B27541
	v_mov_b32_dpp v64, v252 row_shr:8 row_mask:0xf bank_mask:0xf// 000000017A2C: 7E8002FA FF0118FC
	v_mov_b32_dpp v65, v252 row_shl:8 row_mask:0xf bank_mask:0xf// 000000017A34: 7E8202FA FF0108FC
	v_mov_b32_dpp v66, v253 row_shr:8 row_mask:0xf bank_mask:0xf// 000000017A3C: 7E8402FA FF0118FD
	v_mov_b32_dpp v67, v253 row_shl:8 row_mask:0xf bank_mask:0xf// 000000017A44: 7E8602FA FF0108FD
	v_mov_b32_e32 v68, v252                                    // 000000017A4C: 7E8803FC
	v_mov_b32_e32 v69, v253                                    // 000000017A50: 7E8A03FD
	v_cndmask_b32_e64 v252, v68, v64, s[42:43]                 // 000000017A54: D10000FC 00AA8144
	v_cndmask_b32_e64 v254, v68, v65, s[78:79]                 // 000000017A5C: D10000FE 013A8344
	v_cndmask_b32_e64 v253, v69, v66, s[42:43]                 // 000000017A64: D10000FD 00AA8545
	v_cndmask_b32_e64 v255, v69, v67, s[78:79]                 // 000000017A6C: D10000FF 013A8745
	v_mul_f32_e32 v144, v20, v144                              // 000000017A74: 0B212114
	v_mul_f32_e32 v145, v20, v145                              // 000000017A78: 0B232314
	v_mul_f32_e32 v146, v20, v146                              // 000000017A7C: 0B252514
	v_mul_f32_e32 v147, v20, v147                              // 000000017A80: 0B272714
	v_mul_f32_e32 v148, v20, v148                              // 000000017A84: 0B292914
	v_mul_f32_e32 v149, v20, v149                              // 000000017A88: 0B2B2B14
	v_mul_f32_e32 v150, v20, v150                              // 000000017A8C: 0B2D2D14
	v_mul_f32_e32 v151, v20, v151                              // 000000017A90: 0B2F2F14
	v_mul_f32_e32 v152, v20, v152                              // 000000017A94: 0B313114
	v_mul_f32_e32 v153, v20, v153                              // 000000017A98: 0B333314
	v_mul_f32_e32 v154, v20, v154                              // 000000017A9C: 0B353514
	v_mul_f32_e32 v155, v20, v155                              // 000000017AA0: 0B373714
	v_mul_f32_e32 v156, v20, v156                              // 000000017AA4: 0B393914
	v_mul_f32_e32 v157, v20, v157                              // 000000017AA8: 0B3B3B14
	v_mul_f32_e32 v158, v20, v158                              // 000000017AAC: 0B3D3D14
	v_mul_f32_e32 v159, v20, v159                              // 000000017AB0: 0B3F3F14
	v_mul_f32_dpp v144, v248, v144 quad_perm:[0,0,0,0] row_mask:0xf bank_mask:0xf// 000000017AB4: 0B2120FA FF0000F8
	v_mul_f32_dpp v145, v248, v145 quad_perm:[1,1,1,1] row_mask:0xf bank_mask:0xf// 000000017ABC: 0B2322FA FF0055F8
	v_mul_f32_dpp v146, v248, v146 quad_perm:[2,2,2,2] row_mask:0xf bank_mask:0xf// 000000017AC4: 0B2524FA FF00AAF8
	v_mul_f32_dpp v147, v248, v147 quad_perm:[3,3,3,3] row_mask:0xf bank_mask:0xf// 000000017ACC: 0B2726FA FF00FFF8
	v_mul_f32_dpp v148, v249, v148 quad_perm:[0,0,0,0] row_mask:0xf bank_mask:0xf// 000000017AD4: 0B2928FA FF0000F9
	v_mul_f32_dpp v149, v249, v149 quad_perm:[1,1,1,1] row_mask:0xf bank_mask:0xf// 000000017ADC: 0B2B2AFA FF0055F9
	v_mul_f32_dpp v150, v249, v150 quad_perm:[2,2,2,2] row_mask:0xf bank_mask:0xf// 000000017AE4: 0B2D2CFA FF00AAF9
	v_mul_f32_dpp v151, v249, v151 quad_perm:[3,3,3,3] row_mask:0xf bank_mask:0xf// 000000017AEC: 0B2F2EFA FF00FFF9
	v_mul_f32_dpp v152, v250, v152 quad_perm:[0,0,0,0] row_mask:0xf bank_mask:0xf// 000000017AF4: 0B3130FA FF0000FA
	v_mul_f32_dpp v153, v250, v153 quad_perm:[1,1,1,1] row_mask:0xf bank_mask:0xf// 000000017AFC: 0B3332FA FF0055FA
	v_mul_f32_dpp v154, v250, v154 quad_perm:[2,2,2,2] row_mask:0xf bank_mask:0xf// 000000017B04: 0B3534FA FF00AAFA
	v_mul_f32_dpp v155, v250, v155 quad_perm:[3,3,3,3] row_mask:0xf bank_mask:0xf// 000000017B0C: 0B3736FA FF00FFFA
	v_mul_f32_dpp v156, v251, v156 quad_perm:[0,0,0,0] row_mask:0xf bank_mask:0xf// 000000017B14: 0B3938FA FF0000FB
	v_mul_f32_dpp v157, v251, v157 quad_perm:[1,1,1,1] row_mask:0xf bank_mask:0xf// 000000017B1C: 0B3B3AFA FF0055FB
	v_mul_f32_dpp v158, v251, v158 quad_perm:[2,2,2,2] row_mask:0xf bank_mask:0xf// 000000017B24: 0B3D3CFA FF00AAFB
	v_mul_f32_dpp v159, v251, v159 quad_perm:[3,3,3,3] row_mask:0xf bank_mask:0xf// 000000017B2C: 0B3F3EFA FF00FFFB
	s_cmp_le_i32 s90, s89                                      // 000000017B34: BF05595A
	s_cbranch_scc1 label_56C0                                  // 000000017B38: BF850071
	v_mov_b32_e32 v66, 0xff800000                              // 000000017B3C: 7E8402FF FF800000
	s_mov_b32 s60, s90                                         // 000000017B44: BEBC005A
	s_add_u32 s61, s89, 0xff                                   // 000000017B48: 803DFF59 000000FF
	v_mov_b32_e32 v64, s61                                     // 000000017B50: 7E80023D
	v_lshrrev_b32_e32 v240, 4, v0                              // 000000017B54: 21E00084
	v_mul_i32_i24_e32 v240, 4, v240                            // 000000017B58: 0DE1E084
	v_add_u32_e32 v240, s60, v240                              // 000000017B5C: 69E1E03C
	s_mov_b32 s61, 2                                           // 000000017B60: BEBD0082
	s_mul_i32 s60, 16, s7                                      // 000000017B64: 923C0790
	v_sub_u32_e64 v240, v240, s61                              // 000000017B68: D13500F0 00007BF0
	v_add_u32_e32 v240, s60, v240                              // 000000017B70: 69E1E03C
	v_add_u32_e32 v241, 1, v240                                // 000000017B74: 69E3E081
	v_add_u32_e32 v242, 2, v240                                // 000000017B78: 69E5E082
	v_add_u32_e32 v243, 3, v240                                // 000000017B7C: 69E7E083
	v_cmp_le_u32_e64 s[40:41], v240, v64                       // 000000017B80: D0CB0028 000281F0
	v_add_u32_e32 v240, 64, v240                               // 000000017B88: 69E1E0C0
	s_nop 0                                                    // 000000017B8C: BF800000
	v_cndmask_b32_e64 v144, v66, v144, s[40:41]                // 000000017B90: D1000090 00A32142
	v_cmp_le_u32_e64 s[40:41], v241, v64                       // 000000017B98: D0CB0028 000281F1
	v_add_u32_e32 v241, 64, v241                               // 000000017BA0: 69E3E2C0
	s_nop 0                                                    // 000000017BA4: BF800000
	v_cndmask_b32_e64 v145, v66, v145, s[40:41]                // 000000017BA8: D1000091 00A32342
	v_cmp_le_u32_e64 s[40:41], v242, v64                       // 000000017BB0: D0CB0028 000281F2
	v_add_u32_e32 v242, 64, v242                               // 000000017BB8: 69E5E4C0
	s_nop 0                                                    // 000000017BBC: BF800000
	v_cndmask_b32_e64 v146, v66, v146, s[40:41]                // 000000017BC0: D1000092 00A32542
	v_cmp_le_u32_e64 s[40:41], v243, v64                       // 000000017BC8: D0CB0028 000281F3
	v_add_u32_e32 v243, 64, v243                               // 000000017BD0: 69E7E6C0
	s_nop 0                                                    // 000000017BD4: BF800000
	v_cndmask_b32_e64 v147, v66, v147, s[40:41]                // 000000017BD8: D1000093 00A32742
	v_cmp_le_u32_e64 s[40:41], v240, v64                       // 000000017BE0: D0CB0028 000281F0
	v_add_u32_e32 v240, 64, v240                               // 000000017BE8: 69E1E0C0
	s_nop 0                                                    // 000000017BEC: BF800000
	v_cndmask_b32_e64 v148, v66, v148, s[40:41]                // 000000017BF0: D1000094 00A32942
	v_cmp_le_u32_e64 s[40:41], v241, v64                       // 000000017BF8: D0CB0028 000281F1
	v_add_u32_e32 v241, 64, v241                               // 000000017C00: 69E3E2C0
	s_nop 0                                                    // 000000017C04: BF800000
	v_cndmask_b32_e64 v149, v66, v149, s[40:41]                // 000000017C08: D1000095 00A32B42
	v_cmp_le_u32_e64 s[40:41], v242, v64                       // 000000017C10: D0CB0028 000281F2
	v_add_u32_e32 v242, 64, v242                               // 000000017C18: 69E5E4C0
	s_nop 0                                                    // 000000017C1C: BF800000
	v_cndmask_b32_e64 v150, v66, v150, s[40:41]                // 000000017C20: D1000096 00A32D42
	v_cmp_le_u32_e64 s[40:41], v243, v64                       // 000000017C28: D0CB0028 000281F3
	v_add_u32_e32 v243, 64, v243                               // 000000017C30: 69E7E6C0
	s_nop 0                                                    // 000000017C34: BF800000
	v_cndmask_b32_e64 v151, v66, v151, s[40:41]                // 000000017C38: D1000097 00A32F42
	v_cmp_le_u32_e64 s[40:41], v240, v64                       // 000000017C40: D0CB0028 000281F0
	v_add_u32_e32 v240, 64, v240                               // 000000017C48: 69E1E0C0
	s_nop 0                                                    // 000000017C4C: BF800000
	v_cndmask_b32_e64 v152, v66, v152, s[40:41]                // 000000017C50: D1000098 00A33142
	v_cmp_le_u32_e64 s[40:41], v241, v64                       // 000000017C58: D0CB0028 000281F1
	v_add_u32_e32 v241, 64, v241                               // 000000017C60: 69E3E2C0
	s_nop 0                                                    // 000000017C64: BF800000
	v_cndmask_b32_e64 v153, v66, v153, s[40:41]                // 000000017C68: D1000099 00A33342
	v_cmp_le_u32_e64 s[40:41], v242, v64                       // 000000017C70: D0CB0028 000281F2
	v_add_u32_e32 v242, 64, v242                               // 000000017C78: 69E5E4C0
	s_nop 0                                                    // 000000017C7C: BF800000
	v_cndmask_b32_e64 v154, v66, v154, s[40:41]                // 000000017C80: D100009A 00A33542
	v_cmp_le_u32_e64 s[40:41], v243, v64                       // 000000017C88: D0CB0028 000281F3
	v_add_u32_e32 v243, 64, v243                               // 000000017C90: 69E7E6C0
	s_nop 0                                                    // 000000017C94: BF800000
	v_cndmask_b32_e64 v155, v66, v155, s[40:41]                // 000000017C98: D100009B 00A33742
	v_cmp_le_u32_e64 s[40:41], v240, v64                       // 000000017CA0: D0CB0028 000281F0
	v_add_u32_e32 v240, 64, v240                               // 000000017CA8: 69E1E0C0
	s_nop 0                                                    // 000000017CAC: BF800000
	v_cndmask_b32_e64 v156, v66, v156, s[40:41]                // 000000017CB0: D100009C 00A33942
	v_cmp_le_u32_e64 s[40:41], v241, v64                       // 000000017CB8: D0CB0028 000281F1
	v_add_u32_e32 v241, 64, v241                               // 000000017CC0: 69E3E2C0
	s_nop 0                                                    // 000000017CC4: BF800000
	v_cndmask_b32_e64 v157, v66, v157, s[40:41]                // 000000017CC8: D100009D 00A33B42
	v_cmp_le_u32_e64 s[40:41], v242, v64                       // 000000017CD0: D0CB0028 000281F2
	v_add_u32_e32 v242, 64, v242                               // 000000017CD8: 69E5E4C0
	s_nop 0                                                    // 000000017CDC: BF800000
	v_cndmask_b32_e64 v158, v66, v158, s[40:41]                // 000000017CE0: D100009E 00A33D42
	v_cmp_le_u32_e64 s[40:41], v243, v64                       // 000000017CE8: D0CB0028 000281F3
	v_add_u32_e32 v243, 64, v243                               // 000000017CF0: 69E7E6C0
	s_nop 0                                                    // 000000017CF4: BF800000
	v_cndmask_b32_e64 v159, v66, v159, s[40:41]                // 000000017CF8: D100009F 00A33F42

0000000000017d00 <label_56C0>:
	s_add_u32 s90, s91, s90                                    // 000000017D00: 805A5A5B
	v_mov_b32_e32 v48, v144                                    // 000000017D04: 7E600390
	v_max3_f32 v48, v144, v145, v48                            // 000000017D08: D1D30030 04C32390
	v_max3_f32 v48, v146, v147, v48                            // 000000017D10: D1D30030 04C32792
	v_max3_f32 v48, v148, v149, v48                            // 000000017D18: D1D30030 04C32B94
	v_max3_f32 v48, v150, v151, v48                            // 000000017D20: D1D30030 04C32F96
	v_max3_f32 v48, v152, v153, v48                            // 000000017D28: D1D30030 04C33398
	v_max3_f32 v48, v154, v155, v48                            // 000000017D30: D1D30030 04C3379A
	v_max3_f32 v48, v156, v157, v48                            // 000000017D38: D1D30030 04C33B9C
	v_max3_f32 v48, v158, v159, v48                            // 000000017D40: D1D30030 04C33F9E
	ds_write_b32 v8, v48 offset:16896                          // 000000017D48: D81A4200 00003008
	v_mul_f32_e32 v224, v51, v224                              // 000000017D50: 0BC1C133
	v_mul_f32_e32 v225, v51, v225                              // 000000017D54: 0BC3C333
	v_mul_f32_e32 v226, v51, v226                              // 000000017D58: 0BC5C533
	v_mul_f32_e32 v227, v51, v227                              // 000000017D5C: 0BC7C733
	v_mul_f32_e32 v228, v51, v228                              // 000000017D60: 0BC9C933
	v_mul_f32_e32 v229, v51, v229                              // 000000017D64: 0BCBCB33
	v_mul_f32_e32 v230, v51, v230                              // 000000017D68: 0BCDCD33
	v_mul_f32_e32 v231, v51, v231                              // 000000017D6C: 0BCFCF33
	s_waitcnt lgkmcnt(0)                                       // 000000017D70: BF8CC07F
	s_barrier                                                  // 000000017D74: BF8A0000
	ds_read_b32 v64, v7 offset:16896                           // 000000017D78: D86C4200 40000007
	ds_read_b32 v65, v7 offset:16960                           // 000000017D80: D86C4240 41000007
	ds_read_b32 v66, v7 offset:17024                           // 000000017D88: D86C4280 42000007
	ds_read_b32 v67, v7 offset:17088                           // 000000017D90: D86C42C0 43000007
	ds_read_b32 v68, v7 offset:17152                           // 000000017D98: D86C4300 44000007
	ds_read_b32 v69, v7 offset:17216                           // 000000017DA0: D86C4340 45000007
	ds_read_b32 v70, v7 offset:17280                           // 000000017DA8: D86C4380 46000007
	ds_read_b32 v71, v7 offset:17344                           // 000000017DB0: D86C43C0 47000007
	ds_read_b32 v72, v7 offset:17408                           // 000000017DB8: D86C4400 48000007
	ds_read_b32 v73, v7 offset:17472                           // 000000017DC0: D86C4440 49000007
	ds_read_b32 v74, v7 offset:17536                           // 000000017DC8: D86C4480 4A000007
	ds_read_b32 v75, v7 offset:17600                           // 000000017DD0: D86C44C0 4B000007
	ds_read_b32 v76, v7 offset:17664                           // 000000017DD8: D86C4500 4C000007
	ds_read_b32 v77, v7 offset:17728                           // 000000017DE0: D86C4540 4D000007
	ds_read_b32 v78, v7 offset:17792                           // 000000017DE8: D86C4580 4E000007
	ds_read_b32 v79, v7 offset:17856                           // 000000017DF0: D86C45C0 4F000007
	v_mul_f32_e32 v192, v46, v192                              // 000000017DF8: 0B81812E
	v_mul_f32_e32 v193, v46, v193                              // 000000017DFC: 0B83832E
	v_mul_f32_e32 v194, v46, v194                              // 000000017E00: 0B85852E
	v_mul_f32_e32 v195, v46, v195                              // 000000017E04: 0B87872E
	v_mul_f32_e32 v196, v46, v196                              // 000000017E08: 0B89892E
	v_mul_f32_e32 v197, v46, v197                              // 000000017E0C: 0B8B8B2E
	v_mul_f32_e32 v198, v46, v198                              // 000000017E10: 0B8D8D2E
	v_mul_f32_e32 v199, v46, v199                              // 000000017E14: 0B8F8F2E
	s_waitcnt lgkmcnt(0)                                       // 000000017E18: BF8CC07F
	v_max3_f32 v48, v64, v65, v48                              // 000000017E1C: D1D30030 04C28340
	v_max3_f32 v48, v66, v67, v48                              // 000000017E24: D1D30030 04C28742
	v_max3_f32 v48, v68, v69, v48                              // 000000017E2C: D1D30030 04C28B44
	v_max3_f32 v48, v70, v71, v48                              // 000000017E34: D1D30030 04C28F46
	v_max3_f32 v48, v72, v73, v48                              // 000000017E3C: D1D30030 04C29348
	v_max3_f32 v48, v74, v75, v48                              // 000000017E44: D1D30030 04C2974A
	v_max3_f32 v48, v76, v77, v48                              // 000000017E4C: D1D30030 04C29B4C
	v_max3_f32 v48, v78, v79, v48                              // 000000017E54: D1D30030 04C29F4E
	v_mov_b32_e32 v64, 0xff800000                              // 000000017E5C: 7E8002FF FF800000
	v_cmp_eq_u32_e64 s[40:41], v64, v13                        // 000000017E64: D0CA0028 00021B40
	s_nop 1                                                    // 000000017E6C: BF800001
	v_max_f32_e32 v15, v48, v13                                // 000000017E70: 161E1B30
	v_mul_f32_e32 v53, s64, v15                                // 000000017E74: 0A6A1E40
	v_fma_f32 v144, v144, s64, -v53                            // 000000017E78: D1CB0090 84D48190
	v_fma_f32 v145, v145, s64, -v53                            // 000000017E80: D1CB0091 84D48191
	v_fma_f32 v146, v146, s64, -v53                            // 000000017E88: D1CB0092 84D48192
	v_fma_f32 v147, v147, s64, -v53                            // 000000017E90: D1CB0093 84D48193
	v_fma_f32 v148, v148, s64, -v53                            // 000000017E98: D1CB0094 84D48194
	v_fma_f32 v149, v149, s64, -v53                            // 000000017EA0: D1CB0095 84D48195
	v_fma_f32 v150, v150, s64, -v53                            // 000000017EA8: D1CB0096 84D48196
	v_fma_f32 v151, v151, s64, -v53                            // 000000017EB0: D1CB0097 84D48197
	v_fma_f32 v152, v152, s64, -v53                            // 000000017EB8: D1CB0098 84D48198
	v_fma_f32 v153, v153, s64, -v53                            // 000000017EC0: D1CB0099 84D48199
	v_fma_f32 v154, v154, s64, -v53                            // 000000017EC8: D1CB009A 84D4819A
	v_fma_f32 v155, v155, s64, -v53                            // 000000017ED0: D1CB009B 84D4819B
	v_fma_f32 v156, v156, s64, -v53                            // 000000017ED8: D1CB009C 84D4819C
	v_fma_f32 v157, v157, s64, -v53                            // 000000017EE0: D1CB009D 84D4819D
	v_fma_f32 v158, v158, s64, -v53                            // 000000017EE8: D1CB009E 84D4819E
	v_fma_f32 v159, v159, s64, -v53                            // 000000017EF0: D1CB009F 84D4819F
	v_exp_f32_e32 v144, v144                                   // 000000017EF8: 7F204190
	v_exp_f32_e32 v145, v145                                   // 000000017EFC: 7F224191
	v_exp_f32_e32 v146, v146                                   // 000000017F00: 7F244192
	v_exp_f32_e32 v147, v147                                   // 000000017F04: 7F264193
	v_exp_f32_e32 v148, v148                                   // 000000017F08: 7F284194
	v_exp_f32_e32 v149, v149                                   // 000000017F0C: 7F2A4195
	v_exp_f32_e32 v150, v150                                   // 000000017F10: 7F2C4196
	v_exp_f32_e32 v151, v151                                   // 000000017F14: 7F2E4197
	v_exp_f32_e32 v152, v152                                   // 000000017F18: 7F304198
	v_exp_f32_e32 v153, v153                                   // 000000017F1C: 7F324199
	v_exp_f32_e32 v154, v154                                   // 000000017F20: 7F34419A
	v_exp_f32_e32 v155, v155                                   // 000000017F24: 7F36419B
	v_exp_f32_e32 v156, v156                                   // 000000017F28: 7F38419C
	v_exp_f32_e32 v157, v157                                   // 000000017F2C: 7F3A419D
	v_exp_f32_e32 v158, v158                                   // 000000017F30: 7F3C419E
	v_exp_f32_e32 v159, v159                                   // 000000017F34: 7F3E419F
	v_mul_f32_dpp v240, v252, v144 quad_perm:[0,0,0,0] row_mask:0xf bank_mask:0xf// 000000017F38: 0BE120FA FF0000FC
	v_mul_f32_dpp v241, v252, v145 quad_perm:[1,1,1,1] row_mask:0xf bank_mask:0xf// 000000017F40: 0BE322FA FF0055FC
	v_mul_f32_dpp v242, v252, v146 quad_perm:[2,2,2,2] row_mask:0xf bank_mask:0xf// 000000017F48: 0BE524FA FF00AAFC
	v_mul_f32_dpp v243, v252, v147 quad_perm:[3,3,3,3] row_mask:0xf bank_mask:0xf// 000000017F50: 0BE726FA FF00FFFC
	v_mul_f32_dpp v244, v253, v148 quad_perm:[0,0,0,0] row_mask:0xf bank_mask:0xf// 000000017F58: 0BE928FA FF0000FD
	v_mul_f32_dpp v245, v253, v149 quad_perm:[1,1,1,1] row_mask:0xf bank_mask:0xf// 000000017F60: 0BEB2AFA FF0055FD
	v_mul_f32_dpp v246, v253, v150 quad_perm:[2,2,2,2] row_mask:0xf bank_mask:0xf// 000000017F68: 0BED2CFA FF00AAFD
	v_mul_f32_dpp v247, v253, v151 quad_perm:[3,3,3,3] row_mask:0xf bank_mask:0xf// 000000017F70: 0BEF2EFA FF00FFFD
	v_mul_f32_dpp v248, v254, v152 quad_perm:[0,0,0,0] row_mask:0xf bank_mask:0xf// 000000017F78: 0BF130FA FF0000FE
	v_mul_f32_dpp v249, v254, v153 quad_perm:[1,1,1,1] row_mask:0xf bank_mask:0xf// 000000017F80: 0BF332FA FF0055FE
	v_mul_f32_dpp v250, v254, v154 quad_perm:[2,2,2,2] row_mask:0xf bank_mask:0xf// 000000017F88: 0BF534FA FF00AAFE
	v_mul_f32_dpp v251, v254, v155 quad_perm:[3,3,3,3] row_mask:0xf bank_mask:0xf// 000000017F90: 0BF736FA FF00FFFE
	v_mul_f32_dpp v252, v255, v156 quad_perm:[0,0,0,0] row_mask:0xf bank_mask:0xf// 000000017F98: 0BF938FA FF0000FF
	v_mul_f32_dpp v253, v255, v157 quad_perm:[1,1,1,1] row_mask:0xf bank_mask:0xf// 000000017FA0: 0BFB3AFA FF0055FF
	v_mul_f32_dpp v254, v255, v158 quad_perm:[2,2,2,2] row_mask:0xf bank_mask:0xf// 000000017FA8: 0BFD3CFA FF00AAFF
	v_mul_f32_dpp v255, v255, v159 quad_perm:[3,3,3,3] row_mask:0xf bank_mask:0xf// 000000017FB0: 0BFF3EFA FF00FFFF
	v_mov_b32_e32 v48, 0x358637bd                              // 000000017FB8: 7E6002FF 358637BD
	v_max3_f32 v48, |v240|, |v241|, v48                        // 000000017FC0: D1D30330 04C3E3F0
	v_max3_f32 v48, |v242|, |v243|, v48                        // 000000017FC8: D1D30330 04C3E7F2
	v_max3_f32 v48, |v244|, |v245|, v48                        // 000000017FD0: D1D30330 04C3EBF4
	v_max3_f32 v48, |v246|, |v247|, v48                        // 000000017FD8: D1D30330 04C3EFF6
	v_max3_f32 v48, |v248|, |v249|, v48                        // 000000017FE0: D1D30330 04C3F3F8
	v_max3_f32 v48, |v250|, |v251|, v48                        // 000000017FE8: D1D30330 04C3F7FA
	v_max3_f32 v48, |v252|, |v253|, v48                        // 000000017FF0: D1D30330 04C3FBFC
	v_max3_f32 v48, |v254|, |v255|, v48                        // 000000017FF8: D1D30330 04C3FFFE
	ds_write_b32 v8, v48 offset:20992                          // 000000018000: D81A5200 00003008
	v_sub_f32_e32 v51, v13, v15                                // 000000018008: 04661F0D
	v_cndmask_b32_e64 v51, v51, 0, s[40:41]                    // 00000001800C: D1000033 00A10133
	v_mov_b32_e32 v13, v15                                     // 000000018014: 7E1A030F
	v_mul_f32_e32 v51, s64, v51                                // 000000018018: 0A666640
	v_exp_f32_e32 v51, v51                                     // 00000001801C: 7E664133
	s_waitcnt lgkmcnt(0)                                       // 000000018020: BF8CC07F
	s_barrier                                                  // 000000018024: BF8A0000
	ds_read_b32 v64, v7 offset:20992                           // 000000018028: D86C5200 40000007
	ds_read_b32 v65, v7 offset:21056                           // 000000018030: D86C5240 41000007
	ds_read_b32 v66, v7 offset:21120                           // 000000018038: D86C5280 42000007
	ds_read_b32 v67, v7 offset:21184                           // 000000018040: D86C52C0 43000007
	ds_read_b32 v68, v7 offset:21248                           // 000000018048: D86C5300 44000007
	ds_read_b32 v69, v7 offset:21312                           // 000000018050: D86C5340 45000007
	ds_read_b32 v70, v7 offset:21376                           // 000000018058: D86C5380 46000007
	ds_read_b32 v71, v7 offset:21440                           // 000000018060: D86C53C0 47000007
	ds_read_b32 v72, v7 offset:21504                           // 000000018068: D86C5400 48000007
	ds_read_b32 v73, v7 offset:21568                           // 000000018070: D86C5440 49000007
	ds_read_b32 v74, v7 offset:21632                           // 000000018078: D86C5480 4A000007
	ds_read_b32 v75, v7 offset:21696                           // 000000018080: D86C54C0 4B000007
	ds_read_b32 v76, v7 offset:21760                           // 000000018088: D86C5500 4C000007
	ds_read_b32 v77, v7 offset:21824                           // 000000018090: D86C5540 4D000007
	ds_read_b32 v78, v7 offset:21888                           // 000000018098: D86C5580 4E000007
	ds_read_b32 v79, v7 offset:21952                           // 0000000180A0: D86C55C0 4F000007
	v_mul_f32_e32 v40, v51, v40                                // 0000000180A8: 0A505133
	v_mov_b32_e32 v15, v144                                    // 0000000180AC: 7E1E0390
	v_add_f32_e32 v15, v145, v15                               // 0000000180B0: 021E1F91
	v_add_f32_e32 v15, v146, v15                               // 0000000180B4: 021E1F92
	v_add_f32_e32 v15, v147, v15                               // 0000000180B8: 021E1F93
	v_add_f32_e32 v15, v148, v15                               // 0000000180BC: 021E1F94
	v_add_f32_e32 v15, v149, v15                               // 0000000180C0: 021E1F95
	v_add_f32_e32 v15, v150, v15                               // 0000000180C4: 021E1F96
	v_add_f32_e32 v15, v151, v15                               // 0000000180C8: 021E1F97
	v_add_f32_e32 v15, v152, v15                               // 0000000180CC: 021E1F98
	v_add_f32_e32 v15, v153, v15                               // 0000000180D0: 021E1F99
	v_add_f32_e32 v15, v154, v15                               // 0000000180D4: 021E1F9A
	v_add_f32_e32 v15, v155, v15                               // 0000000180D8: 021E1F9B
	v_add_f32_e32 v15, v156, v15                               // 0000000180DC: 021E1F9C
	v_add_f32_e32 v15, v157, v15                               // 0000000180E0: 021E1F9D
	v_add_f32_e32 v15, v158, v15                               // 0000000180E4: 021E1F9E
	v_add_f32_e32 v15, v159, v15                               // 0000000180E8: 021E1F9F
	v_add_f32_e32 v40, v15, v40                                // 0000000180EC: 0250510F
	s_waitcnt lgkmcnt(0)                                       // 0000000180F0: BF8CC07F
	v_max3_f32 v48, |v64|, |v65|, v48                          // 0000000180F4: D1D30330 04C28340
	v_max3_f32 v48, |v66|, |v67|, v48                          // 0000000180FC: D1D30330 04C28742
	v_max3_f32 v48, |v68|, |v69|, v48                          // 000000018104: D1D30330 04C28B44
	v_max3_f32 v48, |v70|, |v71|, v48                          // 00000001810C: D1D30330 04C28F46
	v_max3_f32 v48, |v72|, |v73|, v48                          // 000000018114: D1D30330 04C29348
	v_max3_f32 v48, |v74|, |v75|, v48                          // 00000001811C: D1D30330 04C2974A
	v_max3_f32 v48, |v76|, |v77|, v48                          // 000000018124: D1D30330 04C29B4C
	v_max3_f32 v48, |v78|, |v79|, v48                          // 00000001812C: D1D30330 04C29F4E
	s_nop 2                                                    // 000000018134: BF800002
	v_rcp_f32_e32 v48, v48                                     // 000000018138: 7E604530
	s_nop 1                                                    // 00000001813C: BF800001
	v_mul_f32_e32 v48, 0x43e00000, v48                         // 000000018140: 0A6060FF 43E00000
	v_mul_f32_e32 v144, v48, v240                              // 000000018148: 0B21E130
	v_mul_f32_e32 v145, v48, v241                              // 00000001814C: 0B23E330
	v_mul_f32_e32 v146, v48, v242                              // 000000018150: 0B25E530
	v_mul_f32_e32 v147, v48, v243                              // 000000018154: 0B27E730
	v_mul_f32_e32 v148, v48, v244                              // 000000018158: 0B29E930
	v_mul_f32_e32 v149, v48, v245                              // 00000001815C: 0B2BEB30
	v_mul_f32_e32 v150, v48, v246                              // 000000018160: 0B2DED30
	v_mul_f32_e32 v151, v48, v247                              // 000000018164: 0B2FEF30
	v_mul_f32_e32 v152, v48, v248                              // 000000018168: 0B31F130
	v_mul_f32_e32 v153, v48, v249                              // 00000001816C: 0B33F330
	v_mul_f32_e32 v154, v48, v250                              // 000000018170: 0B35F530
	v_mul_f32_e32 v155, v48, v251                              // 000000018174: 0B37F730
	v_mul_f32_e32 v156, v48, v252                              // 000000018178: 0B39F930
	v_mul_f32_e32 v157, v48, v253                              // 00000001817C: 0B3BFB30
	v_mul_f32_e32 v158, v48, v254                              // 000000018180: 0B3DFD30
	v_mul_f32_e32 v159, v48, v255                              // 000000018184: 0B3FFF30
	v_cvt_pk_fp8_f32 v144, v144, v145                          // 000000018188: D2A20090 00032390
	v_cvt_pk_fp8_f32 v144, v146, v147 op_sel:[0,0,1]           // 000000018190: D2A24090 00032792
	v_cvt_pk_fp8_f32 v145, v148, v149                          // 000000018198: D2A20091 00032B94
	v_cvt_pk_fp8_f32 v145, v150, v151 op_sel:[0,0,1]           // 0000000181A0: D2A24091 00032F96
	v_cvt_pk_fp8_f32 v146, v152, v153                          // 0000000181A8: D2A20092 00033398
	v_cvt_pk_fp8_f32 v146, v154, v155 op_sel:[0,0,1]           // 0000000181B0: D2A24092 0003379A
	v_cvt_pk_fp8_f32 v147, v156, v157                          // 0000000181B8: D2A20093 00033B9C
	v_cvt_pk_fp8_f32 v147, v158, v159 op_sel:[0,0,1]           // 0000000181C0: D2A24093 00033F9E
	ds_write_b32 v10, v144 offset:33280                        // 0000000181C8: D81A8200 0000900A
	ds_write_b32 v10, v145 offset:34304                        // 0000000181D0: D81A8600 0000910A
	ds_write_b32 v10, v146 offset:35328                        // 0000000181D8: D81A8A00 0000920A
	ds_write_b32 v10, v147 offset:36352                        // 0000000181E0: D81A8E00 0000930A
	v_add_f32_e32 v224, v224, v192                             // 0000000181E8: 03C181E0
	v_add_f32_e32 v225, v225, v193                             // 0000000181EC: 03C383E1
	v_add_f32_e32 v226, v226, v194                             // 0000000181F0: 03C585E2
	v_add_f32_e32 v227, v227, v195                             // 0000000181F4: 03C787E3
	v_add_f32_e32 v228, v228, v196                             // 0000000181F8: 03C989E4
	v_add_f32_e32 v229, v229, v197                             // 0000000181FC: 03CB8BE5
	v_add_f32_e32 v230, v230, v198                             // 000000018200: 03CD8DE6
	v_add_f32_e32 v231, v231, v199                             // 000000018204: 03CF8FE7
	v_rcp_f32_e32 v46, v48                                     // 000000018208: 7E5C4530
	s_waitcnt lgkmcnt(0)                                       // 00000001820C: BF8CC07F
	s_barrier                                                  // 000000018210: BF8A0000
	ds_read_b64 v[144:145], v9 offset:33280                    // 000000018214: D8EC8200 90000009
	ds_read_b64 v[146:147], v9 offset:33408                    // 00000001821C: D8EC8280 92000009
	ds_read_b64 v[148:149], v9 offset:34304                    // 000000018224: D8EC8600 94000009
	ds_read_b64 v[150:151], v9 offset:34432                    // 00000001822C: D8EC8680 96000009
	ds_read_b64 v[152:153], v9 offset:35328                    // 000000018234: D8EC8A00 98000009
	ds_read_b64 v[154:155], v9 offset:35456                    // 00000001823C: D8EC8A80 9A000009
	ds_read_b64 v[156:157], v9 offset:36352                    // 000000018244: D8EC8E00 9C000009
	ds_read_b64 v[158:159], v9 offset:36480                    // 00000001824C: D8EC8E80 9E000009
	s_waitcnt vmcnt(15)                                        // 000000018254: BF8C0F7F
	v_mfma_f32_16x16x32_fp8_fp8 v[176:179], a[96:97], v[112:113], 0// 000000018258: D3F300B0 0A02E160
	buffer_load_dwordx4 a[80:83], v30, s[20:23], 0 offen offset:1024// 000000018260: E05C1400 8085501E
	v_mfma_f32_16x16x32_fp8_fp8 v[176:179], a[98:99], v[114:115], v[176:179]// 000000018268: D3F300B0 0EC2E562
	v_mfma_f32_16x16x32_fp8_fp8 v[176:179], a[100:101], v[116:117], v[176:179]// 000000018270: D3F300B0 0EC2E964
	v_mfma_f32_16x16x32_fp8_fp8 v[176:179], a[102:103], v[118:119], v[176:179]// 000000018278: D3F300B0 0EC2ED66
	v_mfma_f32_16x16x32_fp8_fp8 v[176:179], a[104:105], v[120:121], v[176:179]// 000000018280: D3F300B0 0EC2F168
	buffer_load_dwordx4 a[84:87], v31, s[20:23], 0 offen offset:1024// 000000018288: E05C1400 8085541F
	v_mfma_f32_16x16x32_fp8_fp8 v[176:179], a[106:107], v[122:123], v[176:179]// 000000018290: D3F300B0 0EC2F56A
	v_mfma_f32_16x16x32_fp8_fp8 v[176:179], a[108:109], v[124:125], v[176:179]// 000000018298: D3F300B0 0EC2F96C
	v_mfma_f32_16x16x32_fp8_fp8 v[176:179], a[110:111], v[126:127], v[176:179]// 0000000182A0: D3F300B0 0EC2FD6E
	v_mfma_f32_16x16x32_fp8_fp8 v[180:183], a[112:113], v[112:113], 0// 0000000182A8: D3F300B4 0A02E170
	buffer_load_dwordx4 a[88:91], v32, s[20:23], 0 offen offset:1024// 0000000182B0: E05C1400 80855820
	v_mfma_f32_16x16x32_fp8_fp8 v[180:183], a[114:115], v[114:115], v[180:183]// 0000000182B8: D3F300B4 0ED2E572
	v_mfma_f32_16x16x32_fp8_fp8 v[180:183], a[116:117], v[116:117], v[180:183]// 0000000182C0: D3F300B4 0ED2E974
	v_mfma_f32_16x16x32_fp8_fp8 v[180:183], a[118:119], v[118:119], v[180:183]// 0000000182C8: D3F300B4 0ED2ED76
	v_mfma_f32_16x16x32_fp8_fp8 v[180:183], a[120:121], v[120:121], v[180:183]// 0000000182D0: D3F300B4 0ED2F178
	buffer_load_dwordx4 a[92:95], v33, s[20:23], 0 offen offset:1024// 0000000182D8: E05C1400 80855C21
	v_mfma_f32_16x16x32_fp8_fp8 v[180:183], a[122:123], v[122:123], v[180:183]// 0000000182E0: D3F300B4 0ED2F57A
	v_mfma_f32_16x16x32_fp8_fp8 v[180:183], a[124:125], v[124:125], v[180:183]// 0000000182E8: D3F300B4 0ED2F97C
	s_lshr_b32 s57, s70, 4                                     // 0000000182F0: 8F398446
	s_add_u32 s57, 48, s57                                     // 0000000182F4: 803939B0
	v_mfma_f32_16x16x32_fp8_fp8 v[180:183], a[126:127], v[126:127], v[180:183]// 0000000182F8: D3F300B4 0ED2FD7E
	s_cmp_ge_u32 s57, s73                                      // 000000018300: BF094939
	s_cselect_b32 s56, 0, s56                                  // 000000018304: 85383880
	v_mfma_f32_16x16x32_fp8_fp8 v[184:187], a[96:97], v[128:129], 0// 000000018308: D3F300B8 0A030160
	v_mfma_f32_16x16x32_fp8_fp8 v[184:187], a[98:99], v[130:131], v[184:187]// 000000018310: D3F300B8 0EE30562
	v_mfma_f32_16x16x32_fp8_fp8 v[184:187], a[100:101], v[132:133], v[184:187]// 000000018318: D3F300B8 0EE30964
	v_mfma_f32_16x16x32_fp8_fp8 v[184:187], a[102:103], v[134:135], v[184:187]// 000000018320: D3F300B8 0EE30D66
	v_mfma_f32_16x16x32_fp8_fp8 v[184:187], a[104:105], v[136:137], v[184:187]// 000000018328: D3F300B8 0EE31168
	v_mfma_f32_16x16x32_fp8_fp8 v[184:187], a[106:107], v[138:139], v[184:187]// 000000018330: D3F300B8 0EE3156A
	v_mfma_f32_16x16x32_fp8_fp8 v[184:187], a[108:109], v[140:141], v[184:187]// 000000018338: D3F300B8 0EE3196C
	v_mfma_f32_16x16x32_fp8_fp8 v[184:187], a[110:111], v[142:143], v[184:187]// 000000018340: D3F300B8 0EE31D6E
	v_mfma_f32_16x16x32_fp8_fp8 v[188:191], a[112:113], v[128:129], 0// 000000018348: D3F300BC 0A030170
	v_mfma_f32_16x16x32_fp8_fp8 v[188:191], a[114:115], v[130:131], v[188:191]// 000000018350: D3F300BC 0EF30572
	v_mfma_f32_16x16x32_fp8_fp8 v[188:191], a[116:117], v[132:133], v[188:191]// 000000018358: D3F300BC 0EF30974
	v_mfma_f32_16x16x32_fp8_fp8 v[188:191], a[118:119], v[134:135], v[188:191]// 000000018360: D3F300BC 0EF30D76
	v_mfma_f32_16x16x32_fp8_fp8 v[188:191], a[120:121], v[136:137], v[188:191]// 000000018368: D3F300BC 0EF31178
	v_mfma_f32_16x16x32_fp8_fp8 v[188:191], a[122:123], v[138:139], v[188:191]// 000000018370: D3F300BC 0EF3157A
	v_mfma_f32_16x16x32_fp8_fp8 v[188:191], a[124:125], v[140:141], v[188:191]// 000000018378: D3F300BC 0EF3197C
	v_mfma_f32_16x16x32_fp8_fp8 v[188:191], a[126:127], v[142:143], v[188:191]// 000000018380: D3F300BC 0EF31D7E
	v_mfma_f32_16x16x32_fp8_fp8 v[192:195], a[96:97], v[144:145], 0// 000000018388: D3F300C0 0A032160
	v_mfma_f32_16x16x32_fp8_fp8 v[192:195], a[98:99], v[146:147], v[192:195]// 000000018390: D3F300C0 0F032562
	v_mfma_f32_16x16x32_fp8_fp8 v[192:195], a[100:101], v[148:149], v[192:195]// 000000018398: D3F300C0 0F032964
	v_mfma_f32_16x16x32_fp8_fp8 v[192:195], a[102:103], v[150:151], v[192:195]// 0000000183A0: D3F300C0 0F032D66
	v_mfma_f32_16x16x32_fp8_fp8 v[192:195], a[104:105], v[152:153], v[192:195]// 0000000183A8: D3F300C0 0F033168
	v_mfma_f32_16x16x32_fp8_fp8 v[192:195], a[106:107], v[154:155], v[192:195]// 0000000183B0: D3F300C0 0F03356A
	v_mfma_f32_16x16x32_fp8_fp8 v[192:195], a[108:109], v[156:157], v[192:195]// 0000000183B8: D3F300C0 0F03396C
	v_mfma_f32_16x16x32_fp8_fp8 v[192:195], a[110:111], v[158:159], v[192:195]// 0000000183C0: D3F300C0 0F033D6E
	v_mfma_f32_16x16x32_fp8_fp8 v[196:199], a[112:113], v[144:145], 0// 0000000183C8: D3F300C4 0A032170
	v_mfma_f32_16x16x32_fp8_fp8 v[196:199], a[114:115], v[146:147], v[196:199]// 0000000183D0: D3F300C4 0F132572
	v_mfma_f32_16x16x32_fp8_fp8 v[196:199], a[116:117], v[148:149], v[196:199]// 0000000183D8: D3F300C4 0F132974
	v_mfma_f32_16x16x32_fp8_fp8 v[196:199], a[118:119], v[150:151], v[196:199]// 0000000183E0: D3F300C4 0F132D76
	v_mfma_f32_16x16x32_fp8_fp8 v[196:199], a[120:121], v[152:153], v[196:199]// 0000000183E8: D3F300C4 0F133178
	v_mfma_f32_16x16x32_fp8_fp8 v[196:199], a[122:123], v[154:155], v[196:199]// 0000000183F0: D3F300C4 0F13357A
	v_mfma_f32_16x16x32_fp8_fp8 v[196:199], a[124:125], v[156:157], v[196:199]// 0000000183F8: D3F300C4 0F13397C
	v_mfma_f32_16x16x32_fp8_fp8 v[196:199], a[126:127], v[158:159], v[196:199]// 000000018400: D3F300C4 0F133D7E
	v_add_u32_e32 v1, s56, v1                                  // 000000018408: 68020238
	s_addk_i32 s70, 0x100                                      // 00000001840C: B7460100
	s_cmp_lt_i32 s70, s71                                      // 000000018410: BF044746
	s_cbranch_scc0 label_4963                                  // 000000018414: BF84F0DD
	s_branch label_4966                                        // 000000018418: BF82F0DF

000000000001841c <label_5887>:
	s_lshr_b32 s60, s71, 4                                     // 00000001841C: 8F3C8447
	s_cmp_eq_i32 s60, s73                                      // 000000018420: BF00493C
	s_cbranch_scc1 label_69BE                                  // 000000018424: BF851134
	s_lshr_b32 s60, s71, 8                                     // 000000018428: 8F3C8847
	s_and_b32 s60, s60, 1                                      // 00000001842C: 863C813C
	s_cmp_eq_i32 s60, 1                                        // 000000018430: BF00813C
	s_cbranch_scc1 label_6126                                  // 000000018434: BF850898
	s_waitcnt vmcnt(8) lgkmcnt(0)                              // 000000018438: BF8C0078
	s_barrier                                                  // 00000001843C: BF8A0000
	v_mfma_f32_16x16x32_fp8_fp8 v[112:115], a[0:1], v[80:81], 0// 000000018440: D3F30070 0A02A100
	v_mfma_f32_16x16x32_fp8_fp8 v[112:115], a[2:3], v[82:83], v[112:115]// 000000018448: D3F30070 0DC2A502
	v_mfma_f32_16x16x32_fp8_fp8 v[112:115], a[4:5], v[84:85], v[112:115]// 000000018450: D3F30070 0DC2A904
	v_mfma_f32_16x16x32_fp8_fp8 v[112:115], a[6:7], v[86:87], v[112:115]// 000000018458: D3F30070 0DC2AD06
	v_mfma_f32_16x16x32_fp8_fp8 v[116:119], a[8:9], v[80:81], 0// 000000018460: D3F30074 0A02A108
	v_mfma_f32_16x16x32_fp8_fp8 v[116:119], a[10:11], v[82:83], v[116:119]// 000000018468: D3F30074 0DD2A50A
	v_mfma_f32_16x16x32_fp8_fp8 v[116:119], a[12:13], v[84:85], v[116:119]// 000000018470: D3F30074 0DD2A90C
	v_mfma_f32_16x16x32_fp8_fp8 v[116:119], a[14:15], v[86:87], v[116:119]// 000000018478: D3F30074 0DD2AD0E
	v_mfma_f32_16x16x32_fp8_fp8 v[120:123], a[16:17], v[80:81], 0// 000000018480: D3F30078 0A02A110
	v_mfma_f32_16x16x32_fp8_fp8 v[120:123], a[18:19], v[82:83], v[120:123]// 000000018488: D3F30078 0DE2A512
	v_mfma_f32_16x16x32_fp8_fp8 v[120:123], a[20:21], v[84:85], v[120:123]// 000000018490: D3F30078 0DE2A914
	v_mfma_f32_16x16x32_fp8_fp8 v[120:123], a[22:23], v[86:87], v[120:123]// 000000018498: D3F30078 0DE2AD16
	v_mfma_f32_16x16x32_fp8_fp8 v[124:127], a[24:25], v[80:81], 0// 0000000184A0: D3F3007C 0A02A118
	v_mfma_f32_16x16x32_fp8_fp8 v[124:127], a[26:27], v[82:83], v[124:127]// 0000000184A8: D3F3007C 0DF2A51A
	v_mfma_f32_16x16x32_fp8_fp8 v[124:127], a[28:29], v[84:85], v[124:127]// 0000000184B0: D3F3007C 0DF2A91C
	v_mfma_f32_16x16x32_fp8_fp8 v[124:127], a[30:31], v[86:87], v[124:127]// 0000000184B8: D3F3007C 0DF2AD1E
	v_mfma_f32_16x16x32_fp8_fp8 v[128:131], a[0:1], v[88:89], 0// 0000000184C0: D3F30080 0A02B100
	v_mfma_f32_16x16x32_fp8_fp8 v[128:131], a[2:3], v[90:91], v[128:131]// 0000000184C8: D3F30080 0E02B502
	v_mfma_f32_16x16x32_fp8_fp8 v[128:131], a[4:5], v[92:93], v[128:131]// 0000000184D0: D3F30080 0E02B904
	v_mfma_f32_16x16x32_fp8_fp8 v[128:131], a[6:7], v[94:95], v[128:131]// 0000000184D8: D3F30080 0E02BD06
	v_mfma_f32_16x16x32_fp8_fp8 v[132:135], a[8:9], v[88:89], 0// 0000000184E0: D3F30084 0A02B108
	v_mfma_f32_16x16x32_fp8_fp8 v[132:135], a[10:11], v[90:91], v[132:135]// 0000000184E8: D3F30084 0E12B50A
	v_mfma_f32_16x16x32_fp8_fp8 v[132:135], a[12:13], v[92:93], v[132:135]// 0000000184F0: D3F30084 0E12B90C
	v_mfma_f32_16x16x32_fp8_fp8 v[132:135], a[14:15], v[94:95], v[132:135]// 0000000184F8: D3F30084 0E12BD0E
	v_mfma_f32_16x16x32_fp8_fp8 v[136:139], a[16:17], v[88:89], 0// 000000018500: D3F30088 0A02B110
	v_mfma_f32_16x16x32_fp8_fp8 v[136:139], a[18:19], v[90:91], v[136:139]// 000000018508: D3F30088 0E22B512
	v_mfma_f32_16x16x32_fp8_fp8 v[136:139], a[20:21], v[92:93], v[136:139]// 000000018510: D3F30088 0E22B914
	v_mfma_f32_16x16x32_fp8_fp8 v[136:139], a[22:23], v[94:95], v[136:139]// 000000018518: D3F30088 0E22BD16
	v_mfma_f32_16x16x32_fp8_fp8 v[140:143], a[24:25], v[88:89], 0// 000000018520: D3F3008C 0A02B118
	v_mfma_f32_16x16x32_fp8_fp8 v[140:143], a[26:27], v[90:91], v[140:143]// 000000018528: D3F3008C 0E32B51A
	v_mfma_f32_16x16x32_fp8_fp8 v[140:143], a[28:29], v[92:93], v[140:143]// 000000018530: D3F3008C 0E32B91C
	v_mfma_f32_16x16x32_fp8_fp8 v[140:143], a[30:31], v[94:95], v[140:143]// 000000018538: D3F3008C 0E32BD1E
	v_mfma_f32_16x16x32_fp8_fp8 v[144:147], a[0:1], v[96:97], 0// 000000018540: D3F30090 0A02C100
	v_mfma_f32_16x16x32_fp8_fp8 v[144:147], a[2:3], v[98:99], v[144:147]// 000000018548: D3F30090 0E42C502
	v_mfma_f32_16x16x32_fp8_fp8 v[144:147], a[4:5], v[100:101], v[144:147]// 000000018550: D3F30090 0E42C904
	v_mfma_f32_16x16x32_fp8_fp8 v[144:147], a[6:7], v[102:103], v[144:147]// 000000018558: D3F30090 0E42CD06
	v_mfma_f32_16x16x32_fp8_fp8 v[148:151], a[8:9], v[96:97], 0// 000000018560: D3F30094 0A02C108
	v_mfma_f32_16x16x32_fp8_fp8 v[148:151], a[10:11], v[98:99], v[148:151]// 000000018568: D3F30094 0E52C50A
	v_mfma_f32_16x16x32_fp8_fp8 v[148:151], a[12:13], v[100:101], v[148:151]// 000000018570: D3F30094 0E52C90C
	v_mfma_f32_16x16x32_fp8_fp8 v[148:151], a[14:15], v[102:103], v[148:151]// 000000018578: D3F30094 0E52CD0E
	v_mfma_f32_16x16x32_fp8_fp8 v[152:155], a[16:17], v[96:97], 0// 000000018580: D3F30098 0A02C110
	v_mfma_f32_16x16x32_fp8_fp8 v[152:155], a[18:19], v[98:99], v[152:155]// 000000018588: D3F30098 0E62C512
	v_mfma_f32_16x16x32_fp8_fp8 v[152:155], a[20:21], v[100:101], v[152:155]// 000000018590: D3F30098 0E62C914
	v_mfma_f32_16x16x32_fp8_fp8 v[152:155], a[22:23], v[102:103], v[152:155]// 000000018598: D3F30098 0E62CD16
	v_mfma_f32_16x16x32_fp8_fp8 v[156:159], a[24:25], v[96:97], 0// 0000000185A0: D3F3009C 0A02C118
	v_mfma_f32_16x16x32_fp8_fp8 v[156:159], a[26:27], v[98:99], v[156:159]// 0000000185A8: D3F3009C 0E72C51A
	v_mfma_f32_16x16x32_fp8_fp8 v[156:159], a[28:29], v[100:101], v[156:159]// 0000000185B0: D3F3009C 0E72C91C
	v_mfma_f32_16x16x32_fp8_fp8 v[156:159], a[30:31], v[102:103], v[156:159]// 0000000185B8: D3F3009C 0E72CD1E
	v_mov_b32_dpp v64, v42 row_shr:4 row_mask:0xf bank_mask:0xf// 0000000185C0: 7E8002FA FF01142A
	v_mov_b32_dpp v65, v42 row_shl:4 row_mask:0xf bank_mask:0xf// 0000000185C8: 7E8202FA FF01042A
	v_cndmask_b32_e64 v248, v42, v64, s[44:45]                 // 0000000185D0: D10000F8 00B2812A
	v_cndmask_b32_e64 v249, v65, v42, s[44:45]                 // 0000000185D8: D10000F9 00B25541
	v_mov_b32_dpp v64, v248 row_shr:8 row_mask:0xf bank_mask:0xf// 0000000185E0: 7E8002FA FF0118F8
	v_mov_b32_dpp v65, v248 row_shl:8 row_mask:0xf bank_mask:0xf// 0000000185E8: 7E8202FA FF0108F8
	v_mov_b32_dpp v66, v249 row_shr:8 row_mask:0xf bank_mask:0xf// 0000000185F0: 7E8402FA FF0118F9
	v_mov_b32_dpp v67, v249 row_shl:8 row_mask:0xf bank_mask:0xf// 0000000185F8: 7E8602FA FF0108F9
	v_mov_b32_e32 v68, v248                                    // 000000018600: 7E8803F8
	v_mov_b32_e32 v69, v249                                    // 000000018604: 7E8A03F9
	v_cndmask_b32_e64 v248, v68, v64, s[42:43]                 // 000000018608: D10000F8 00AA8144
	v_cndmask_b32_e64 v250, v68, v65, s[78:79]                 // 000000018610: D10000FA 013A8344
	v_cndmask_b32_e64 v249, v69, v66, s[42:43]                 // 000000018618: D10000F9 00AA8545
	v_cndmask_b32_e64 v251, v69, v67, s[78:79]                 // 000000018620: D10000FB 013A8745
	v_mov_b32_dpp v64, v57 row_shr:4 row_mask:0xf bank_mask:0xf// 000000018628: 7E8002FA FF011439
	v_mov_b32_dpp v65, v57 row_shl:4 row_mask:0xf bank_mask:0xf// 000000018630: 7E8202FA FF010439
	v_cndmask_b32_e64 v252, v57, v64, s[44:45]                 // 000000018638: D10000FC 00B28139
	v_cndmask_b32_e64 v253, v65, v57, s[44:45]                 // 000000018640: D10000FD 00B27341
	v_mov_b32_dpp v64, v252 row_shr:8 row_mask:0xf bank_mask:0xf// 000000018648: 7E8002FA FF0118FC
	v_mov_b32_dpp v65, v252 row_shl:8 row_mask:0xf bank_mask:0xf// 000000018650: 7E8202FA FF0108FC
	v_mov_b32_dpp v66, v253 row_shr:8 row_mask:0xf bank_mask:0xf// 000000018658: 7E8402FA FF0118FD
	v_mov_b32_dpp v67, v253 row_shl:8 row_mask:0xf bank_mask:0xf// 000000018660: 7E8602FA FF0108FD
	v_mov_b32_e32 v68, v252                                    // 000000018668: 7E8803FC
	v_mov_b32_e32 v69, v253                                    // 00000001866C: 7E8A03FD
	v_cndmask_b32_e64 v252, v68, v64, s[42:43]                 // 000000018670: D10000FC 00AA8144
	v_cndmask_b32_e64 v254, v68, v65, s[78:79]                 // 000000018678: D10000FE 013A8344
	v_cndmask_b32_e64 v253, v69, v66, s[42:43]                 // 000000018680: D10000FD 00AA8545
	v_cndmask_b32_e64 v255, v69, v67, s[78:79]                 // 000000018688: D10000FF 013A8745
	v_mul_f32_e32 v112, v18, v112                              // 000000018690: 0AE0E112
	v_mul_f32_e32 v113, v18, v113                              // 000000018694: 0AE2E312
	v_mul_f32_e32 v114, v18, v114                              // 000000018698: 0AE4E512
	v_mul_f32_e32 v115, v18, v115                              // 00000001869C: 0AE6E712
	v_mul_f32_e32 v116, v18, v116                              // 0000000186A0: 0AE8E912
	v_mul_f32_e32 v117, v18, v117                              // 0000000186A4: 0AEAEB12
	v_mul_f32_e32 v118, v18, v118                              // 0000000186A8: 0AECED12
	v_mul_f32_e32 v119, v18, v119                              // 0000000186AC: 0AEEEF12
	v_mul_f32_e32 v120, v18, v120                              // 0000000186B0: 0AF0F112
	v_mul_f32_e32 v121, v18, v121                              // 0000000186B4: 0AF2F312
	v_mul_f32_e32 v122, v18, v122                              // 0000000186B8: 0AF4F512
	v_mul_f32_e32 v123, v18, v123                              // 0000000186BC: 0AF6F712
	v_mul_f32_e32 v124, v18, v124                              // 0000000186C0: 0AF8F912
	v_mul_f32_e32 v125, v18, v125                              // 0000000186C4: 0AFAFB12
	v_mul_f32_e32 v126, v18, v126                              // 0000000186C8: 0AFCFD12
	v_mul_f32_e32 v127, v18, v127                              // 0000000186CC: 0AFEFF12
	v_mul_f32_dpp v112, v248, v112 quad_perm:[0,0,0,0] row_mask:0xf bank_mask:0xf// 0000000186D0: 0AE0E0FA FF0000F8
	v_mul_f32_dpp v113, v248, v113 quad_perm:[1,1,1,1] row_mask:0xf bank_mask:0xf// 0000000186D8: 0AE2E2FA FF0055F8
	v_mul_f32_dpp v114, v248, v114 quad_perm:[2,2,2,2] row_mask:0xf bank_mask:0xf// 0000000186E0: 0AE4E4FA FF00AAF8
	v_mul_f32_dpp v115, v248, v115 quad_perm:[3,3,3,3] row_mask:0xf bank_mask:0xf// 0000000186E8: 0AE6E6FA FF00FFF8
	v_mul_f32_dpp v116, v249, v116 quad_perm:[0,0,0,0] row_mask:0xf bank_mask:0xf// 0000000186F0: 0AE8E8FA FF0000F9
	v_mul_f32_dpp v117, v249, v117 quad_perm:[1,1,1,1] row_mask:0xf bank_mask:0xf// 0000000186F8: 0AEAEAFA FF0055F9
	v_mul_f32_dpp v118, v249, v118 quad_perm:[2,2,2,2] row_mask:0xf bank_mask:0xf// 000000018700: 0AECECFA FF00AAF9
	v_mul_f32_dpp v119, v249, v119 quad_perm:[3,3,3,3] row_mask:0xf bank_mask:0xf// 000000018708: 0AEEEEFA FF00FFF9
	v_mul_f32_dpp v120, v250, v120 quad_perm:[0,0,0,0] row_mask:0xf bank_mask:0xf// 000000018710: 0AF0F0FA FF0000FA
	v_mul_f32_dpp v121, v250, v121 quad_perm:[1,1,1,1] row_mask:0xf bank_mask:0xf// 000000018718: 0AF2F2FA FF0055FA
	v_mul_f32_dpp v122, v250, v122 quad_perm:[2,2,2,2] row_mask:0xf bank_mask:0xf// 000000018720: 0AF4F4FA FF00AAFA
	v_mul_f32_dpp v123, v250, v123 quad_perm:[3,3,3,3] row_mask:0xf bank_mask:0xf// 000000018728: 0AF6F6FA FF00FFFA
	v_mul_f32_dpp v124, v251, v124 quad_perm:[0,0,0,0] row_mask:0xf bank_mask:0xf// 000000018730: 0AF8F8FA FF0000FB
	v_mul_f32_dpp v125, v251, v125 quad_perm:[1,1,1,1] row_mask:0xf bank_mask:0xf// 000000018738: 0AFAFAFA FF0055FB
	v_mul_f32_dpp v126, v251, v126 quad_perm:[2,2,2,2] row_mask:0xf bank_mask:0xf// 000000018740: 0AFCFCFA FF00AAFB
	v_mul_f32_dpp v127, v251, v127 quad_perm:[3,3,3,3] row_mask:0xf bank_mask:0xf// 000000018748: 0AFEFEFA FF00FFFB
	s_cmp_le_i32 s90, s89                                      // 000000018750: BF05595A
	s_cbranch_scc1 label_59C7                                  // 000000018754: BF850071
	v_mov_b32_e32 v66, 0xff800000                              // 000000018758: 7E8402FF FF800000
	s_mov_b32 s60, s90                                         // 000000018760: BEBC005A
	s_add_u32 s61, s89, 0xff                                   // 000000018764: 803DFF59 000000FF
	v_mov_b32_e32 v64, s61                                     // 00000001876C: 7E80023D
	v_lshrrev_b32_e32 v240, 4, v0                              // 000000018770: 21E00084
	v_mul_i32_i24_e32 v240, 4, v240                            // 000000018774: 0DE1E084
	v_add_u32_e32 v240, s60, v240                              // 000000018778: 69E1E03C
	s_mov_b32 s61, 0                                           // 00000001877C: BEBD0080
	s_mul_i32 s60, 16, s7                                      // 000000018780: 923C0790
	v_sub_u32_e64 v240, v240, s61                              // 000000018784: D13500F0 00007BF0
	v_add_u32_e32 v240, s60, v240                              // 00000001878C: 69E1E03C
	v_add_u32_e32 v241, 1, v240                                // 000000018790: 69E3E081
	v_add_u32_e32 v242, 2, v240                                // 000000018794: 69E5E082
	v_add_u32_e32 v243, 3, v240                                // 000000018798: 69E7E083
	v_cmp_le_u32_e64 s[40:41], v240, v64                       // 00000001879C: D0CB0028 000281F0
	v_add_u32_e32 v240, 64, v240                               // 0000000187A4: 69E1E0C0
	s_nop 0                                                    // 0000000187A8: BF800000
	v_cndmask_b32_e64 v112, v66, v112, s[40:41]                // 0000000187AC: D1000070 00A2E142
	v_cmp_le_u32_e64 s[40:41], v241, v64                       // 0000000187B4: D0CB0028 000281F1
	v_add_u32_e32 v241, 64, v241                               // 0000000187BC: 69E3E2C0
	s_nop 0                                                    // 0000000187C0: BF800000
	v_cndmask_b32_e64 v113, v66, v113, s[40:41]                // 0000000187C4: D1000071 00A2E342
	v_cmp_le_u32_e64 s[40:41], v242, v64                       // 0000000187CC: D0CB0028 000281F2
	v_add_u32_e32 v242, 64, v242                               // 0000000187D4: 69E5E4C0
	s_nop 0                                                    // 0000000187D8: BF800000
	v_cndmask_b32_e64 v114, v66, v114, s[40:41]                // 0000000187DC: D1000072 00A2E542
	v_cmp_le_u32_e64 s[40:41], v243, v64                       // 0000000187E4: D0CB0028 000281F3
	v_add_u32_e32 v243, 64, v243                               // 0000000187EC: 69E7E6C0
	s_nop 0                                                    // 0000000187F0: BF800000
	v_cndmask_b32_e64 v115, v66, v115, s[40:41]                // 0000000187F4: D1000073 00A2E742
	v_cmp_le_u32_e64 s[40:41], v240, v64                       // 0000000187FC: D0CB0028 000281F0
	v_add_u32_e32 v240, 64, v240                               // 000000018804: 69E1E0C0
	s_nop 0                                                    // 000000018808: BF800000
	v_cndmask_b32_e64 v116, v66, v116, s[40:41]                // 00000001880C: D1000074 00A2E942
	v_cmp_le_u32_e64 s[40:41], v241, v64                       // 000000018814: D0CB0028 000281F1
	v_add_u32_e32 v241, 64, v241                               // 00000001881C: 69E3E2C0
	s_nop 0                                                    // 000000018820: BF800000
	v_cndmask_b32_e64 v117, v66, v117, s[40:41]                // 000000018824: D1000075 00A2EB42
	v_cmp_le_u32_e64 s[40:41], v242, v64                       // 00000001882C: D0CB0028 000281F2
	v_add_u32_e32 v242, 64, v242                               // 000000018834: 69E5E4C0
	s_nop 0                                                    // 000000018838: BF800000
	v_cndmask_b32_e64 v118, v66, v118, s[40:41]                // 00000001883C: D1000076 00A2ED42
	v_cmp_le_u32_e64 s[40:41], v243, v64                       // 000000018844: D0CB0028 000281F3
	v_add_u32_e32 v243, 64, v243                               // 00000001884C: 69E7E6C0
	s_nop 0                                                    // 000000018850: BF800000
	v_cndmask_b32_e64 v119, v66, v119, s[40:41]                // 000000018854: D1000077 00A2EF42
	v_cmp_le_u32_e64 s[40:41], v240, v64                       // 00000001885C: D0CB0028 000281F0
	v_add_u32_e32 v240, 64, v240                               // 000000018864: 69E1E0C0
	s_nop 0                                                    // 000000018868: BF800000
	v_cndmask_b32_e64 v120, v66, v120, s[40:41]                // 00000001886C: D1000078 00A2F142
	v_cmp_le_u32_e64 s[40:41], v241, v64                       // 000000018874: D0CB0028 000281F1
	v_add_u32_e32 v241, 64, v241                               // 00000001887C: 69E3E2C0
	s_nop 0                                                    // 000000018880: BF800000
	v_cndmask_b32_e64 v121, v66, v121, s[40:41]                // 000000018884: D1000079 00A2F342
	v_cmp_le_u32_e64 s[40:41], v242, v64                       // 00000001888C: D0CB0028 000281F2
	v_add_u32_e32 v242, 64, v242                               // 000000018894: 69E5E4C0
	s_nop 0                                                    // 000000018898: BF800000
	v_cndmask_b32_e64 v122, v66, v122, s[40:41]                // 00000001889C: D100007A 00A2F542
	v_cmp_le_u32_e64 s[40:41], v243, v64                       // 0000000188A4: D0CB0028 000281F3
	v_add_u32_e32 v243, 64, v243                               // 0000000188AC: 69E7E6C0
	s_nop 0                                                    // 0000000188B0: BF800000
	v_cndmask_b32_e64 v123, v66, v123, s[40:41]                // 0000000188B4: D100007B 00A2F742
	v_cmp_le_u32_e64 s[40:41], v240, v64                       // 0000000188BC: D0CB0028 000281F0
	v_add_u32_e32 v240, 64, v240                               // 0000000188C4: 69E1E0C0
	s_nop 0                                                    // 0000000188C8: BF800000
	v_cndmask_b32_e64 v124, v66, v124, s[40:41]                // 0000000188CC: D100007C 00A2F942
	v_cmp_le_u32_e64 s[40:41], v241, v64                       // 0000000188D4: D0CB0028 000281F1
	v_add_u32_e32 v241, 64, v241                               // 0000000188DC: 69E3E2C0
	s_nop 0                                                    // 0000000188E0: BF800000
	v_cndmask_b32_e64 v125, v66, v125, s[40:41]                // 0000000188E4: D100007D 00A2FB42
	v_cmp_le_u32_e64 s[40:41], v242, v64                       // 0000000188EC: D0CB0028 000281F2
	v_add_u32_e32 v242, 64, v242                               // 0000000188F4: 69E5E4C0
	s_nop 0                                                    // 0000000188F8: BF800000
	v_cndmask_b32_e64 v126, v66, v126, s[40:41]                // 0000000188FC: D100007E 00A2FD42
	v_cmp_le_u32_e64 s[40:41], v243, v64                       // 000000018904: D0CB0028 000281F3
	v_add_u32_e32 v243, 64, v243                               // 00000001890C: 69E7E6C0
	s_nop 0                                                    // 000000018910: BF800000
	v_cndmask_b32_e64 v127, v66, v127, s[40:41]                // 000000018914: D100007F 00A2FF42

000000000001891c <label_59C7>:
	s_and_b32 s60, s72, 0xff                                   // 00000001891C: 863CFF48 000000FF
	v_mov_b32_e32 v65, s60                                     // 000000018924: 7E82023C
	v_lshrrev_b32_e32 v240, 4, v0                              // 000000018928: 21E00084
	v_mul_i32_i24_e32 v240, 4, v240                            // 00000001892C: 0DE1E084
	s_mul_i32 s60, s7, 16                                      // 000000018930: 923C9007
	v_add_u32_e32 v240, s60, v240                              // 000000018934: 69E1E03C
	v_add_u32_e32 v241, 1, v240                                // 000000018938: 69E3E081
	v_add_u32_e32 v242, 2, v240                                // 00000001893C: 69E5E082
	v_add_u32_e32 v243, 3, v240                                // 000000018940: 69E7E083
	v_mov_b32_e32 v64, 0xff800000                              // 000000018944: 7E8002FF FF800000
	v_cmp_lt_u32_e64 s[40:41], v240, v65                       // 00000001894C: D0C90028 000283F0
	v_add_u32_e32 v240, 64, v240                               // 000000018954: 69E1E0C0
	s_nop 0                                                    // 000000018958: BF800000
	v_cndmask_b32_e64 v112, v64, v112, s[40:41]                // 00000001895C: D1000070 00A2E140
	v_cmp_lt_u32_e64 s[40:41], v241, v65                       // 000000018964: D0C90028 000283F1
	v_add_u32_e32 v241, 64, v241                               // 00000001896C: 69E3E2C0
	s_nop 0                                                    // 000000018970: BF800000
	v_cndmask_b32_e64 v113, v64, v113, s[40:41]                // 000000018974: D1000071 00A2E340
	v_cmp_lt_u32_e64 s[40:41], v242, v65                       // 00000001897C: D0C90028 000283F2
	v_add_u32_e32 v242, 64, v242                               // 000000018984: 69E5E4C0
	s_nop 0                                                    // 000000018988: BF800000
	v_cndmask_b32_e64 v114, v64, v114, s[40:41]                // 00000001898C: D1000072 00A2E540
	v_cmp_lt_u32_e64 s[40:41], v243, v65                       // 000000018994: D0C90028 000283F3
	v_add_u32_e32 v243, 64, v243                               // 00000001899C: 69E7E6C0
	s_nop 0                                                    // 0000000189A0: BF800000
	v_cndmask_b32_e64 v115, v64, v115, s[40:41]                // 0000000189A4: D1000073 00A2E740
	v_cmp_lt_u32_e64 s[40:41], v240, v65                       // 0000000189AC: D0C90028 000283F0
	v_add_u32_e32 v240, 64, v240                               // 0000000189B4: 69E1E0C0
	s_nop 0                                                    // 0000000189B8: BF800000
	v_cndmask_b32_e64 v116, v64, v116, s[40:41]                // 0000000189BC: D1000074 00A2E940
	v_cmp_lt_u32_e64 s[40:41], v241, v65                       // 0000000189C4: D0C90028 000283F1
	v_add_u32_e32 v241, 64, v241                               // 0000000189CC: 69E3E2C0
	s_nop 0                                                    // 0000000189D0: BF800000
	v_cndmask_b32_e64 v117, v64, v117, s[40:41]                // 0000000189D4: D1000075 00A2EB40
	v_cmp_lt_u32_e64 s[40:41], v242, v65                       // 0000000189DC: D0C90028 000283F2
	v_add_u32_e32 v242, 64, v242                               // 0000000189E4: 69E5E4C0
	s_nop 0                                                    // 0000000189E8: BF800000
	v_cndmask_b32_e64 v118, v64, v118, s[40:41]                // 0000000189EC: D1000076 00A2ED40
	v_cmp_lt_u32_e64 s[40:41], v243, v65                       // 0000000189F4: D0C90028 000283F3
	v_add_u32_e32 v243, 64, v243                               // 0000000189FC: 69E7E6C0
	s_nop 0                                                    // 000000018A00: BF800000
	v_cndmask_b32_e64 v119, v64, v119, s[40:41]                // 000000018A04: D1000077 00A2EF40
	v_cmp_lt_u32_e64 s[40:41], v240, v65                       // 000000018A0C: D0C90028 000283F0
	v_add_u32_e32 v240, 64, v240                               // 000000018A14: 69E1E0C0
	s_nop 0                                                    // 000000018A18: BF800000
	v_cndmask_b32_e64 v120, v64, v120, s[40:41]                // 000000018A1C: D1000078 00A2F140
	v_cmp_lt_u32_e64 s[40:41], v241, v65                       // 000000018A24: D0C90028 000283F1
	v_add_u32_e32 v241, 64, v241                               // 000000018A2C: 69E3E2C0
	s_nop 0                                                    // 000000018A30: BF800000
	v_cndmask_b32_e64 v121, v64, v121, s[40:41]                // 000000018A34: D1000079 00A2F340
	v_cmp_lt_u32_e64 s[40:41], v242, v65                       // 000000018A3C: D0C90028 000283F2
	v_add_u32_e32 v242, 64, v242                               // 000000018A44: 69E5E4C0
	s_nop 0                                                    // 000000018A48: BF800000
	v_cndmask_b32_e64 v122, v64, v122, s[40:41]                // 000000018A4C: D100007A 00A2F540
	v_cmp_lt_u32_e64 s[40:41], v243, v65                       // 000000018A54: D0C90028 000283F3
	v_add_u32_e32 v243, 64, v243                               // 000000018A5C: 69E7E6C0
	s_nop 0                                                    // 000000018A60: BF800000
	v_cndmask_b32_e64 v123, v64, v123, s[40:41]                // 000000018A64: D100007B 00A2F740
	v_cmp_lt_u32_e64 s[40:41], v240, v65                       // 000000018A6C: D0C90028 000283F0
	v_add_u32_e32 v240, 64, v240                               // 000000018A74: 69E1E0C0
	s_nop 0                                                    // 000000018A78: BF800000
	v_cndmask_b32_e64 v124, v64, v124, s[40:41]                // 000000018A7C: D100007C 00A2F940
	v_cmp_lt_u32_e64 s[40:41], v241, v65                       // 000000018A84: D0C90028 000283F1
	v_add_u32_e32 v241, 64, v241                               // 000000018A8C: 69E3E2C0
	s_nop 0                                                    // 000000018A90: BF800000
	v_cndmask_b32_e64 v125, v64, v125, s[40:41]                // 000000018A94: D100007D 00A2FB40
	v_cmp_lt_u32_e64 s[40:41], v242, v65                       // 000000018A9C: D0C90028 000283F2
	v_add_u32_e32 v242, 64, v242                               // 000000018AA4: 69E5E4C0
	s_nop 0                                                    // 000000018AA8: BF800000
	v_cndmask_b32_e64 v126, v64, v126, s[40:41]                // 000000018AAC: D100007E 00A2FD40
	v_cmp_lt_u32_e64 s[40:41], v243, v65                       // 000000018AB4: D0C90028 000283F3
	v_add_u32_e32 v243, 64, v243                               // 000000018ABC: 69E7E6C0
	s_nop 0                                                    // 000000018AC0: BF800000
	v_cndmask_b32_e64 v127, v64, v127, s[40:41]                // 000000018AC4: D100007F 00A2FF40
	v_mov_b32_e32 v48, v112                                    // 000000018ACC: 7E600370
	v_max3_f32 v48, v112, v113, v48                            // 000000018AD0: D1D30030 04C2E370
	v_max3_f32 v48, v114, v115, v48                            // 000000018AD8: D1D30030 04C2E772
	v_max3_f32 v48, v116, v117, v48                            // 000000018AE0: D1D30030 04C2EB74
	v_max3_f32 v48, v118, v119, v48                            // 000000018AE8: D1D30030 04C2EF76
	v_max3_f32 v48, v120, v121, v48                            // 000000018AF0: D1D30030 04C2F378
	v_max3_f32 v48, v122, v123, v48                            // 000000018AF8: D1D30030 04C2F77A
	v_max3_f32 v48, v124, v125, v48                            // 000000018B00: D1D30030 04C2FB7C
	v_max3_f32 v48, v126, v127, v48                            // 000000018B08: D1D30030 04C2FF7E
	ds_write_b32 v8, v48 offset:16896                          // 000000018B10: D81A4200 00003008
	v_mul_u32_u24_dpp v64, v17, v54 row_newbcast:1 row_mask:0xf bank_mask:0xf// 000000018B18: 10806CFA FF015111
	v_mul_u32_u24_dpp v65, v17, v54 row_newbcast:5 row_mask:0xf bank_mask:0xf// 000000018B20: 10826CFA FF015511
	v_mul_u32_u24_dpp v66, v17, v54 row_newbcast:9 row_mask:0xf bank_mask:0xf// 000000018B28: 10846CFA FF015911
	v_mul_u32_u24_dpp v67, v17, v54 row_newbcast:13 row_mask:0xf bank_mask:0xf// 000000018B30: 10866CFA FF015D11
	v_add_u32_e32 v34, v64, v6                                 // 000000018B38: 68440D40
	v_add_u32_e32 v35, v65, v6                                 // 000000018B3C: 68460D41
	v_add_u32_e32 v36, v66, v6                                 // 000000018B40: 68480D42
	v_add_u32_e32 v37, v67, v6                                 // 000000018B44: 684A0D43
	v_mul_f32_e32 v208, v49, v208                              // 000000018B48: 0BA1A131
	v_mul_f32_e32 v209, v49, v209                              // 000000018B4C: 0BA3A331
	v_mul_f32_e32 v210, v49, v210                              // 000000018B50: 0BA5A531
	v_mul_f32_e32 v211, v49, v211                              // 000000018B54: 0BA7A731
	v_mul_f32_e32 v212, v49, v212                              // 000000018B58: 0BA9A931
	v_mul_f32_e32 v213, v49, v213                              // 000000018B5C: 0BABAB31
	v_mul_f32_e32 v214, v49, v214                              // 000000018B60: 0BADAD31
	v_mul_f32_e32 v215, v49, v215                              // 000000018B64: 0BAFAF31
	s_waitcnt lgkmcnt(0)                                       // 000000018B68: BF8CC07F
	s_barrier                                                  // 000000018B6C: BF8A0000
	ds_read_b32 v64, v7 offset:16896                           // 000000018B70: D86C4200 40000007
	ds_read_b32 v65, v7 offset:16960                           // 000000018B78: D86C4240 41000007
	ds_read_b32 v66, v7 offset:17024                           // 000000018B80: D86C4280 42000007
	ds_read_b32 v67, v7 offset:17088                           // 000000018B88: D86C42C0 43000007
	ds_read_b32 v68, v7 offset:17152                           // 000000018B90: D86C4300 44000007
	ds_read_b32 v69, v7 offset:17216                           // 000000018B98: D86C4340 45000007
	ds_read_b32 v70, v7 offset:17280                           // 000000018BA0: D86C4380 46000007
	ds_read_b32 v71, v7 offset:17344                           // 000000018BA8: D86C43C0 47000007
	ds_read_b32 v72, v7 offset:17408                           // 000000018BB0: D86C4400 48000007
	ds_read_b32 v73, v7 offset:17472                           // 000000018BB8: D86C4440 49000007
	ds_read_b32 v74, v7 offset:17536                           // 000000018BC0: D86C4480 4A000007
	ds_read_b32 v75, v7 offset:17600                           // 000000018BC8: D86C44C0 4B000007
	ds_read_b32 v76, v7 offset:17664                           // 000000018BD0: D86C4500 4C000007
	ds_read_b32 v77, v7 offset:17728                           // 000000018BD8: D86C4540 4D000007
	ds_read_b32 v78, v7 offset:17792                           // 000000018BE0: D86C4580 4E000007
	ds_read_b32 v79, v7 offset:17856                           // 000000018BE8: D86C45C0 4F000007
	v_mul_f32_e32 v176, v44, v176                              // 000000018BF0: 0B61612C
	v_mul_f32_e32 v177, v44, v177                              // 000000018BF4: 0B63632C
	v_mul_f32_e32 v178, v44, v178                              // 000000018BF8: 0B65652C
	v_mul_f32_e32 v179, v44, v179                              // 000000018BFC: 0B67672C
	v_mul_f32_e32 v180, v44, v180                              // 000000018C00: 0B69692C
	v_mul_f32_e32 v181, v44, v181                              // 000000018C04: 0B6B6B2C
	v_mul_f32_e32 v182, v44, v182                              // 000000018C08: 0B6D6D2C
	v_mul_f32_e32 v183, v44, v183                              // 000000018C0C: 0B6F6F2C
	s_waitcnt lgkmcnt(0)                                       // 000000018C10: BF8CC07F
	v_max3_f32 v48, v64, v65, v48                              // 000000018C14: D1D30030 04C28340
	v_max3_f32 v48, v66, v67, v48                              // 000000018C1C: D1D30030 04C28742
	v_max3_f32 v48, v68, v69, v48                              // 000000018C24: D1D30030 04C28B44
	v_max3_f32 v48, v70, v71, v48                              // 000000018C2C: D1D30030 04C28F46
	v_max3_f32 v48, v72, v73, v48                              // 000000018C34: D1D30030 04C29348
	v_max3_f32 v48, v74, v75, v48                              // 000000018C3C: D1D30030 04C2974A
	v_max3_f32 v48, v76, v77, v48                              // 000000018C44: D1D30030 04C29B4C
	v_max3_f32 v48, v78, v79, v48                              // 000000018C4C: D1D30030 04C29F4E
	v_mov_b32_e32 v64, 0xff800000                              // 000000018C54: 7E8002FF FF800000
	v_cmp_eq_u32_e64 s[40:41], v64, v11                        // 000000018C5C: D0CA0028 00021740
	s_nop 1                                                    // 000000018C64: BF800001
	v_max_f32_e32 v15, v48, v11                                // 000000018C68: 161E1730
	v_mul_f32_e32 v53, s64, v15                                // 000000018C6C: 0A6A1E40
	v_fma_f32 v112, v112, s64, -v53                            // 000000018C70: D1CB0070 84D48170
	v_fma_f32 v113, v113, s64, -v53                            // 000000018C78: D1CB0071 84D48171
	v_fma_f32 v114, v114, s64, -v53                            // 000000018C80: D1CB0072 84D48172
	v_fma_f32 v115, v115, s64, -v53                            // 000000018C88: D1CB0073 84D48173
	v_fma_f32 v116, v116, s64, -v53                            // 000000018C90: D1CB0074 84D48174
	v_fma_f32 v117, v117, s64, -v53                            // 000000018C98: D1CB0075 84D48175
	v_fma_f32 v118, v118, s64, -v53                            // 000000018CA0: D1CB0076 84D48176
	v_fma_f32 v119, v119, s64, -v53                            // 000000018CA8: D1CB0077 84D48177
	v_fma_f32 v120, v120, s64, -v53                            // 000000018CB0: D1CB0078 84D48178
	v_fma_f32 v121, v121, s64, -v53                            // 000000018CB8: D1CB0079 84D48179
	v_fma_f32 v122, v122, s64, -v53                            // 000000018CC0: D1CB007A 84D4817A
	v_fma_f32 v123, v123, s64, -v53                            // 000000018CC8: D1CB007B 84D4817B
	v_fma_f32 v124, v124, s64, -v53                            // 000000018CD0: D1CB007C 84D4817C
	v_fma_f32 v125, v125, s64, -v53                            // 000000018CD8: D1CB007D 84D4817D
	v_fma_f32 v126, v126, s64, -v53                            // 000000018CE0: D1CB007E 84D4817E
	v_fma_f32 v127, v127, s64, -v53                            // 000000018CE8: D1CB007F 84D4817F
	v_exp_f32_e32 v112, v112                                   // 000000018CF0: 7EE04170
	v_exp_f32_e32 v113, v113                                   // 000000018CF4: 7EE24171
	v_exp_f32_e32 v114, v114                                   // 000000018CF8: 7EE44172
	v_exp_f32_e32 v115, v115                                   // 000000018CFC: 7EE64173
	v_exp_f32_e32 v116, v116                                   // 000000018D00: 7EE84174
	v_exp_f32_e32 v117, v117                                   // 000000018D04: 7EEA4175
	v_exp_f32_e32 v118, v118                                   // 000000018D08: 7EEC4176
	v_exp_f32_e32 v119, v119                                   // 000000018D0C: 7EEE4177
	v_exp_f32_e32 v120, v120                                   // 000000018D10: 7EF04178
	v_exp_f32_e32 v121, v121                                   // 000000018D14: 7EF24179
	v_exp_f32_e32 v122, v122                                   // 000000018D18: 7EF4417A
	v_exp_f32_e32 v123, v123                                   // 000000018D1C: 7EF6417B
	v_exp_f32_e32 v124, v124                                   // 000000018D20: 7EF8417C
	v_exp_f32_e32 v125, v125                                   // 000000018D24: 7EFA417D
	v_exp_f32_e32 v126, v126                                   // 000000018D28: 7EFC417E
	v_exp_f32_e32 v127, v127                                   // 000000018D2C: 7EFE417F
	v_mul_f32_dpp v240, v252, v112 quad_perm:[0,0,0,0] row_mask:0xf bank_mask:0xf// 000000018D30: 0BE0E0FA FF0000FC
	v_mul_f32_dpp v241, v252, v113 quad_perm:[1,1,1,1] row_mask:0xf bank_mask:0xf// 000000018D38: 0BE2E2FA FF0055FC
	v_mul_f32_dpp v242, v252, v114 quad_perm:[2,2,2,2] row_mask:0xf bank_mask:0xf// 000000018D40: 0BE4E4FA FF00AAFC
	v_mul_f32_dpp v243, v252, v115 quad_perm:[3,3,3,3] row_mask:0xf bank_mask:0xf// 000000018D48: 0BE6E6FA FF00FFFC
	v_mul_f32_dpp v244, v253, v116 quad_perm:[0,0,0,0] row_mask:0xf bank_mask:0xf// 000000018D50: 0BE8E8FA FF0000FD
	v_mul_f32_dpp v245, v253, v117 quad_perm:[1,1,1,1] row_mask:0xf bank_mask:0xf// 000000018D58: 0BEAEAFA FF0055FD
	v_mul_f32_dpp v246, v253, v118 quad_perm:[2,2,2,2] row_mask:0xf bank_mask:0xf// 000000018D60: 0BECECFA FF00AAFD
	v_mul_f32_dpp v247, v253, v119 quad_perm:[3,3,3,3] row_mask:0xf bank_mask:0xf// 000000018D68: 0BEEEEFA FF00FFFD
	v_mul_f32_dpp v248, v254, v120 quad_perm:[0,0,0,0] row_mask:0xf bank_mask:0xf// 000000018D70: 0BF0F0FA FF0000FE
	v_mul_f32_dpp v249, v254, v121 quad_perm:[1,1,1,1] row_mask:0xf bank_mask:0xf// 000000018D78: 0BF2F2FA FF0055FE
	v_mul_f32_dpp v250, v254, v122 quad_perm:[2,2,2,2] row_mask:0xf bank_mask:0xf// 000000018D80: 0BF4F4FA FF00AAFE
	v_mul_f32_dpp v251, v254, v123 quad_perm:[3,3,3,3] row_mask:0xf bank_mask:0xf// 000000018D88: 0BF6F6FA FF00FFFE
	v_mul_f32_dpp v252, v255, v124 quad_perm:[0,0,0,0] row_mask:0xf bank_mask:0xf// 000000018D90: 0BF8F8FA FF0000FF
	v_mul_f32_dpp v253, v255, v125 quad_perm:[1,1,1,1] row_mask:0xf bank_mask:0xf// 000000018D98: 0BFAFAFA FF0055FF
	v_mul_f32_dpp v254, v255, v126 quad_perm:[2,2,2,2] row_mask:0xf bank_mask:0xf// 000000018DA0: 0BFCFCFA FF00AAFF
	v_mul_f32_dpp v255, v255, v127 quad_perm:[3,3,3,3] row_mask:0xf bank_mask:0xf// 000000018DA8: 0BFEFEFA FF00FFFF
	v_mov_b32_e32 v48, 0x358637bd                              // 000000018DB0: 7E6002FF 358637BD
	v_max3_f32 v48, |v240|, |v241|, v48                        // 000000018DB8: D1D30330 04C3E3F0
	v_max3_f32 v48, |v242|, |v243|, v48                        // 000000018DC0: D1D30330 04C3E7F2
	v_max3_f32 v48, |v244|, |v245|, v48                        // 000000018DC8: D1D30330 04C3EBF4
	v_max3_f32 v48, |v246|, |v247|, v48                        // 000000018DD0: D1D30330 04C3EFF6
	v_max3_f32 v48, |v248|, |v249|, v48                        // 000000018DD8: D1D30330 04C3F3F8
	v_max3_f32 v48, |v250|, |v251|, v48                        // 000000018DE0: D1D30330 04C3F7FA
	v_max3_f32 v48, |v252|, |v253|, v48                        // 000000018DE8: D1D30330 04C3FBFC
	v_max3_f32 v48, |v254|, |v255|, v48                        // 000000018DF0: D1D30330 04C3FFFE
	ds_write_b32 v8, v48 offset:20992                          // 000000018DF8: D81A5200 00003008
	v_sub_f32_e32 v49, v11, v15                                // 000000018E00: 04621F0B
	v_cndmask_b32_e64 v49, v49, 0, s[40:41]                    // 000000018E04: D1000031 00A10131
	v_mov_b32_e32 v11, v15                                     // 000000018E0C: 7E16030F
	v_mul_f32_e32 v49, s64, v49                                // 000000018E10: 0A626240
	v_exp_f32_e32 v49, v49                                     // 000000018E14: 7E624131
	s_waitcnt lgkmcnt(0)                                       // 000000018E18: BF8CC07F
	s_barrier                                                  // 000000018E1C: BF8A0000
	ds_read_b32 v64, v7 offset:20992                           // 000000018E20: D86C5200 40000007
	ds_read_b32 v65, v7 offset:21056                           // 000000018E28: D86C5240 41000007
	ds_read_b32 v66, v7 offset:21120                           // 000000018E30: D86C5280 42000007
	ds_read_b32 v67, v7 offset:21184                           // 000000018E38: D86C52C0 43000007
	ds_read_b32 v68, v7 offset:21248                           // 000000018E40: D86C5300 44000007
	ds_read_b32 v69, v7 offset:21312                           // 000000018E48: D86C5340 45000007
	ds_read_b32 v70, v7 offset:21376                           // 000000018E50: D86C5380 46000007
	ds_read_b32 v71, v7 offset:21440                           // 000000018E58: D86C53C0 47000007
	ds_read_b32 v72, v7 offset:21504                           // 000000018E60: D86C5400 48000007
	ds_read_b32 v73, v7 offset:21568                           // 000000018E68: D86C5440 49000007
	ds_read_b32 v74, v7 offset:21632                           // 000000018E70: D86C5480 4A000007
	ds_read_b32 v75, v7 offset:21696                           // 000000018E78: D86C54C0 4B000007
	ds_read_b32 v76, v7 offset:21760                           // 000000018E80: D86C5500 4C000007
	ds_read_b32 v77, v7 offset:21824                           // 000000018E88: D86C5540 4D000007
	ds_read_b32 v78, v7 offset:21888                           // 000000018E90: D86C5580 4E000007
	ds_read_b32 v79, v7 offset:21952                           // 000000018E98: D86C55C0 4F000007
	v_mul_f32_e32 v38, v49, v38                                // 000000018EA0: 0A4C4D31
	v_mov_b32_e32 v15, v112                                    // 000000018EA4: 7E1E0370
	v_add_f32_e32 v15, v113, v15                               // 000000018EA8: 021E1F71
	v_add_f32_e32 v15, v114, v15                               // 000000018EAC: 021E1F72
	v_add_f32_e32 v15, v115, v15                               // 000000018EB0: 021E1F73
	v_add_f32_e32 v15, v116, v15                               // 000000018EB4: 021E1F74
	v_add_f32_e32 v15, v117, v15                               // 000000018EB8: 021E1F75
	v_add_f32_e32 v15, v118, v15                               // 000000018EBC: 021E1F76
	v_add_f32_e32 v15, v119, v15                               // 000000018EC0: 021E1F77
	v_add_f32_e32 v15, v120, v15                               // 000000018EC4: 021E1F78
	v_add_f32_e32 v15, v121, v15                               // 000000018EC8: 021E1F79
	v_add_f32_e32 v15, v122, v15                               // 000000018ECC: 021E1F7A
	v_add_f32_e32 v15, v123, v15                               // 000000018ED0: 021E1F7B
	v_add_f32_e32 v15, v124, v15                               // 000000018ED4: 021E1F7C
	v_add_f32_e32 v15, v125, v15                               // 000000018ED8: 021E1F7D
	v_add_f32_e32 v15, v126, v15                               // 000000018EDC: 021E1F7E
	v_add_f32_e32 v15, v127, v15                               // 000000018EE0: 021E1F7F
	v_add_f32_e32 v38, v15, v38                                // 000000018EE4: 024C4D0F
	s_waitcnt lgkmcnt(0)                                       // 000000018EE8: BF8CC07F
	v_max3_f32 v48, |v64|, |v65|, v48                          // 000000018EEC: D1D30330 04C28340
	v_max3_f32 v48, |v66|, |v67|, v48                          // 000000018EF4: D1D30330 04C28742
	v_max3_f32 v48, |v68|, |v69|, v48                          // 000000018EFC: D1D30330 04C28B44
	v_max3_f32 v48, |v70|, |v71|, v48                          // 000000018F04: D1D30330 04C28F46
	v_max3_f32 v48, |v72|, |v73|, v48                          // 000000018F0C: D1D30330 04C29348
	v_max3_f32 v48, |v74|, |v75|, v48                          // 000000018F14: D1D30330 04C2974A
	v_max3_f32 v48, |v76|, |v77|, v48                          // 000000018F1C: D1D30330 04C29B4C
	v_max3_f32 v48, |v78|, |v79|, v48                          // 000000018F24: D1D30330 04C29F4E
	s_nop 2                                                    // 000000018F2C: BF800002
	v_rcp_f32_e32 v48, v48                                     // 000000018F30: 7E604530
	s_nop 1                                                    // 000000018F34: BF800001
	v_mul_f32_e32 v48, 0x43e00000, v48                         // 000000018F38: 0A6060FF 43E00000
	v_mul_f32_e32 v112, v48, v240                              // 000000018F40: 0AE1E130
	v_mul_f32_e32 v113, v48, v241                              // 000000018F44: 0AE3E330
	v_mul_f32_e32 v114, v48, v242                              // 000000018F48: 0AE5E530
	v_mul_f32_e32 v115, v48, v243                              // 000000018F4C: 0AE7E730
	v_mul_f32_e32 v116, v48, v244                              // 000000018F50: 0AE9E930
	v_mul_f32_e32 v117, v48, v245                              // 000000018F54: 0AEBEB30
	v_mul_f32_e32 v118, v48, v246                              // 000000018F58: 0AEDED30
	v_mul_f32_e32 v119, v48, v247                              // 000000018F5C: 0AEFEF30
	v_mul_f32_e32 v120, v48, v248                              // 000000018F60: 0AF1F130
	v_mul_f32_e32 v121, v48, v249                              // 000000018F64: 0AF3F330
	v_mul_f32_e32 v122, v48, v250                              // 000000018F68: 0AF5F530
	v_mul_f32_e32 v123, v48, v251                              // 000000018F6C: 0AF7F730
	v_mul_f32_e32 v124, v48, v252                              // 000000018F70: 0AF9F930
	v_mul_f32_e32 v125, v48, v253                              // 000000018F74: 0AFBFB30
	v_mul_f32_e32 v126, v48, v254                              // 000000018F78: 0AFDFD30
	v_mul_f32_e32 v127, v48, v255                              // 000000018F7C: 0AFFFF30
	v_cvt_pk_fp8_f32 v112, v112, v113                          // 000000018F80: D2A20070 0002E370
	v_cvt_pk_fp8_f32 v112, v114, v115 op_sel:[0,0,1]           // 000000018F88: D2A24070 0002E772
	v_cvt_pk_fp8_f32 v113, v116, v117                          // 000000018F90: D2A20071 0002EB74
	v_cvt_pk_fp8_f32 v113, v118, v119 op_sel:[0,0,1]           // 000000018F98: D2A24071 0002EF76
	v_cvt_pk_fp8_f32 v114, v120, v121                          // 000000018FA0: D2A20072 0002F378
	v_cvt_pk_fp8_f32 v114, v122, v123 op_sel:[0,0,1]           // 000000018FA8: D2A24072 0002F77A
	v_cvt_pk_fp8_f32 v115, v124, v125                          // 000000018FB0: D2A20073 0002FB7C
	v_cvt_pk_fp8_f32 v115, v126, v127 op_sel:[0,0,1]           // 000000018FB8: D2A24073 0002FF7E
	ds_write_b32 v10, v112 offset:25088                        // 000000018FC0: D81A6200 0000700A
	ds_write_b32 v10, v113 offset:26112                        // 000000018FC8: D81A6600 0000710A
	ds_write_b32 v10, v114 offset:27136                        // 000000018FD0: D81A6A00 0000720A
	ds_write_b32 v10, v115 offset:28160                        // 000000018FD8: D81A6E00 0000730A
	v_add_f32_e32 v208, v208, v176                             // 000000018FE0: 03A161D0
	v_add_f32_e32 v209, v209, v177                             // 000000018FE4: 03A363D1
	v_add_f32_e32 v210, v210, v178                             // 000000018FE8: 03A565D2
	v_add_f32_e32 v211, v211, v179                             // 000000018FEC: 03A767D3
	v_add_f32_e32 v212, v212, v180                             // 000000018FF0: 03A969D4
	v_add_f32_e32 v213, v213, v181                             // 000000018FF4: 03AB6BD5
	v_add_f32_e32 v214, v214, v182                             // 000000018FF8: 03AD6DD6
	v_add_f32_e32 v215, v215, v183                             // 000000018FFC: 03AF6FD7
	v_rcp_f32_e32 v44, v48                                     // 000000019000: 7E584530
	s_waitcnt lgkmcnt(0)                                       // 000000019004: BF8CC07F
	s_barrier                                                  // 000000019008: BF8A0000
	ds_read_b64 v[112:113], v9 offset:25088                    // 00000001900C: D8EC6200 70000009
	ds_read_b64 v[114:115], v9 offset:25216                    // 000000019014: D8EC6280 72000009
	ds_read_b64 v[116:117], v9 offset:26112                    // 00000001901C: D8EC6600 74000009
	ds_read_b64 v[118:119], v9 offset:26240                    // 000000019024: D8EC6680 76000009
	ds_read_b64 v[120:121], v9 offset:27136                    // 00000001902C: D8EC6A00 78000009
	ds_read_b64 v[122:123], v9 offset:27264                    // 000000019034: D8EC6A80 7A000009
	ds_read_b64 v[124:125], v9 offset:28160                    // 00000001903C: D8EC6E00 7C000009
	ds_read_b64 v[126:127], v9 offset:28288                    // 000000019044: D8EC6E80 7E000009
	v_mov_b32_dpp v64, v42 row_shr:4 row_mask:0xf bank_mask:0xf// 00000001904C: 7E8002FA FF01142A
	v_mov_b32_dpp v65, v42 row_shl:4 row_mask:0xf bank_mask:0xf// 000000019054: 7E8202FA FF01042A
	v_cndmask_b32_e64 v248, v42, v64, s[44:45]                 // 00000001905C: D10000F8 00B2812A
	v_cndmask_b32_e64 v249, v65, v42, s[44:45]                 // 000000019064: D10000F9 00B25541
	v_mov_b32_dpp v64, v248 row_shr:8 row_mask:0xf bank_mask:0xf// 00000001906C: 7E8002FA FF0118F8
	v_mov_b32_dpp v65, v248 row_shl:8 row_mask:0xf bank_mask:0xf// 000000019074: 7E8202FA FF0108F8
	v_mov_b32_dpp v66, v249 row_shr:8 row_mask:0xf bank_mask:0xf// 00000001907C: 7E8402FA FF0118F9
	v_mov_b32_dpp v67, v249 row_shl:8 row_mask:0xf bank_mask:0xf// 000000019084: 7E8602FA FF0108F9
	v_mov_b32_e32 v68, v248                                    // 00000001908C: 7E8803F8
	v_mov_b32_e32 v69, v249                                    // 000000019090: 7E8A03F9
	v_cndmask_b32_e64 v248, v68, v64, s[42:43]                 // 000000019094: D10000F8 00AA8144
	v_cndmask_b32_e64 v250, v68, v65, s[78:79]                 // 00000001909C: D10000FA 013A8344
	v_cndmask_b32_e64 v249, v69, v66, s[42:43]                 // 0000000190A4: D10000F9 00AA8545
	v_cndmask_b32_e64 v251, v69, v67, s[78:79]                 // 0000000190AC: D10000FB 013A8745
	v_mov_b32_dpp v64, v57 row_shr:4 row_mask:0xf bank_mask:0xf// 0000000190B4: 7E8002FA FF011439
	v_mov_b32_dpp v65, v57 row_shl:4 row_mask:0xf bank_mask:0xf// 0000000190BC: 7E8202FA FF010439
	v_cndmask_b32_e64 v252, v57, v64, s[44:45]                 // 0000000190C4: D10000FC 00B28139
	v_cndmask_b32_e64 v253, v65, v57, s[44:45]                 // 0000000190CC: D10000FD 00B27341
	v_mov_b32_dpp v64, v252 row_shr:8 row_mask:0xf bank_mask:0xf// 0000000190D4: 7E8002FA FF0118FC
	v_mov_b32_dpp v65, v252 row_shl:8 row_mask:0xf bank_mask:0xf// 0000000190DC: 7E8202FA FF0108FC
	v_mov_b32_dpp v66, v253 row_shr:8 row_mask:0xf bank_mask:0xf// 0000000190E4: 7E8402FA FF0118FD
	v_mov_b32_dpp v67, v253 row_shl:8 row_mask:0xf bank_mask:0xf// 0000000190EC: 7E8602FA FF0108FD
	v_mov_b32_e32 v68, v252                                    // 0000000190F4: 7E8803FC
	v_mov_b32_e32 v69, v253                                    // 0000000190F8: 7E8A03FD
	v_cndmask_b32_e64 v252, v68, v64, s[42:43]                 // 0000000190FC: D10000FC 00AA8144
	v_cndmask_b32_e64 v254, v68, v65, s[78:79]                 // 000000019104: D10000FE 013A8344
	v_cndmask_b32_e64 v253, v69, v66, s[42:43]                 // 00000001910C: D10000FD 00AA8545
	v_cndmask_b32_e64 v255, v69, v67, s[78:79]                 // 000000019114: D10000FF 013A8745
	v_mul_f32_e32 v128, v19, v128                              // 00000001911C: 0B010113
	v_mul_f32_e32 v129, v19, v129                              // 000000019120: 0B030313
	v_mul_f32_e32 v130, v19, v130                              // 000000019124: 0B050513
	v_mul_f32_e32 v131, v19, v131                              // 000000019128: 0B070713
	v_mul_f32_e32 v132, v19, v132                              // 00000001912C: 0B090913
	v_mul_f32_e32 v133, v19, v133                              // 000000019130: 0B0B0B13
	v_mul_f32_e32 v134, v19, v134                              // 000000019134: 0B0D0D13
	v_mul_f32_e32 v135, v19, v135                              // 000000019138: 0B0F0F13
	v_mul_f32_e32 v136, v19, v136                              // 00000001913C: 0B111113
	v_mul_f32_e32 v137, v19, v137                              // 000000019140: 0B131313
	v_mul_f32_e32 v138, v19, v138                              // 000000019144: 0B151513
	v_mul_f32_e32 v139, v19, v139                              // 000000019148: 0B171713
	v_mul_f32_e32 v140, v19, v140                              // 00000001914C: 0B191913
	v_mul_f32_e32 v141, v19, v141                              // 000000019150: 0B1B1B13
	v_mul_f32_e32 v142, v19, v142                              // 000000019154: 0B1D1D13
	v_mul_f32_e32 v143, v19, v143                              // 000000019158: 0B1F1F13
	v_mul_f32_dpp v128, v248, v128 quad_perm:[0,0,0,0] row_mask:0xf bank_mask:0xf// 00000001915C: 0B0100FA FF0000F8
	v_mul_f32_dpp v129, v248, v129 quad_perm:[1,1,1,1] row_mask:0xf bank_mask:0xf// 000000019164: 0B0302FA FF0055F8
	v_mul_f32_dpp v130, v248, v130 quad_perm:[2,2,2,2] row_mask:0xf bank_mask:0xf// 00000001916C: 0B0504FA FF00AAF8
	v_mul_f32_dpp v131, v248, v131 quad_perm:[3,3,3,3] row_mask:0xf bank_mask:0xf// 000000019174: 0B0706FA FF00FFF8
	v_mul_f32_dpp v132, v249, v132 quad_perm:[0,0,0,0] row_mask:0xf bank_mask:0xf// 00000001917C: 0B0908FA FF0000F9
	v_mul_f32_dpp v133, v249, v133 quad_perm:[1,1,1,1] row_mask:0xf bank_mask:0xf// 000000019184: 0B0B0AFA FF0055F9
	v_mul_f32_dpp v134, v249, v134 quad_perm:[2,2,2,2] row_mask:0xf bank_mask:0xf// 00000001918C: 0B0D0CFA FF00AAF9
	v_mul_f32_dpp v135, v249, v135 quad_perm:[3,3,3,3] row_mask:0xf bank_mask:0xf// 000000019194: 0B0F0EFA FF00FFF9
	v_mul_f32_dpp v136, v250, v136 quad_perm:[0,0,0,0] row_mask:0xf bank_mask:0xf// 00000001919C: 0B1110FA FF0000FA
	v_mul_f32_dpp v137, v250, v137 quad_perm:[1,1,1,1] row_mask:0xf bank_mask:0xf// 0000000191A4: 0B1312FA FF0055FA
	v_mul_f32_dpp v138, v250, v138 quad_perm:[2,2,2,2] row_mask:0xf bank_mask:0xf// 0000000191AC: 0B1514FA FF00AAFA
	v_mul_f32_dpp v139, v250, v139 quad_perm:[3,3,3,3] row_mask:0xf bank_mask:0xf// 0000000191B4: 0B1716FA FF00FFFA
	v_mul_f32_dpp v140, v251, v140 quad_perm:[0,0,0,0] row_mask:0xf bank_mask:0xf// 0000000191BC: 0B1918FA FF0000FB
	v_mul_f32_dpp v141, v251, v141 quad_perm:[1,1,1,1] row_mask:0xf bank_mask:0xf// 0000000191C4: 0B1B1AFA FF0055FB
	v_mul_f32_dpp v142, v251, v142 quad_perm:[2,2,2,2] row_mask:0xf bank_mask:0xf// 0000000191CC: 0B1D1CFA FF00AAFB
	v_mul_f32_dpp v143, v251, v143 quad_perm:[3,3,3,3] row_mask:0xf bank_mask:0xf// 0000000191D4: 0B1F1EFA FF00FFFB
	s_cmp_le_i32 s90, s89                                      // 0000000191DC: BF05595A
	s_cbranch_scc1 label_5C6A                                  // 0000000191E0: BF850071
	v_mov_b32_e32 v66, 0xff800000                              // 0000000191E4: 7E8402FF FF800000
	s_mov_b32 s60, s90                                         // 0000000191EC: BEBC005A
	s_add_u32 s61, s89, 0xff                                   // 0000000191F0: 803DFF59 000000FF
	v_mov_b32_e32 v64, s61                                     // 0000000191F8: 7E80023D
	v_lshrrev_b32_e32 v240, 4, v0                              // 0000000191FC: 21E00084
	v_mul_i32_i24_e32 v240, 4, v240                            // 000000019200: 0DE1E084
	v_add_u32_e32 v240, s60, v240                              // 000000019204: 69E1E03C
	s_mov_b32 s61, 1                                           // 000000019208: BEBD0081
	s_mul_i32 s60, 16, s7                                      // 00000001920C: 923C0790
	v_sub_u32_e64 v240, v240, s61                              // 000000019210: D13500F0 00007BF0
	v_add_u32_e32 v240, s60, v240                              // 000000019218: 69E1E03C
	v_add_u32_e32 v241, 1, v240                                // 00000001921C: 69E3E081
	v_add_u32_e32 v242, 2, v240                                // 000000019220: 69E5E082
	v_add_u32_e32 v243, 3, v240                                // 000000019224: 69E7E083
	v_cmp_le_u32_e64 s[40:41], v240, v64                       // 000000019228: D0CB0028 000281F0
	v_add_u32_e32 v240, 64, v240                               // 000000019230: 69E1E0C0
	s_nop 0                                                    // 000000019234: BF800000
	v_cndmask_b32_e64 v128, v66, v128, s[40:41]                // 000000019238: D1000080 00A30142
	v_cmp_le_u32_e64 s[40:41], v241, v64                       // 000000019240: D0CB0028 000281F1
	v_add_u32_e32 v241, 64, v241                               // 000000019248: 69E3E2C0
	s_nop 0                                                    // 00000001924C: BF800000
	v_cndmask_b32_e64 v129, v66, v129, s[40:41]                // 000000019250: D1000081 00A30342
	v_cmp_le_u32_e64 s[40:41], v242, v64                       // 000000019258: D0CB0028 000281F2
	v_add_u32_e32 v242, 64, v242                               // 000000019260: 69E5E4C0
	s_nop 0                                                    // 000000019264: BF800000
	v_cndmask_b32_e64 v130, v66, v130, s[40:41]                // 000000019268: D1000082 00A30542
	v_cmp_le_u32_e64 s[40:41], v243, v64                       // 000000019270: D0CB0028 000281F3
	v_add_u32_e32 v243, 64, v243                               // 000000019278: 69E7E6C0
	s_nop 0                                                    // 00000001927C: BF800000
	v_cndmask_b32_e64 v131, v66, v131, s[40:41]                // 000000019280: D1000083 00A30742
	v_cmp_le_u32_e64 s[40:41], v240, v64                       // 000000019288: D0CB0028 000281F0
	v_add_u32_e32 v240, 64, v240                               // 000000019290: 69E1E0C0
	s_nop 0                                                    // 000000019294: BF800000
	v_cndmask_b32_e64 v132, v66, v132, s[40:41]                // 000000019298: D1000084 00A30942
	v_cmp_le_u32_e64 s[40:41], v241, v64                       // 0000000192A0: D0CB0028 000281F1
	v_add_u32_e32 v241, 64, v241                               // 0000000192A8: 69E3E2C0
	s_nop 0                                                    // 0000000192AC: BF800000
	v_cndmask_b32_e64 v133, v66, v133, s[40:41]                // 0000000192B0: D1000085 00A30B42
	v_cmp_le_u32_e64 s[40:41], v242, v64                       // 0000000192B8: D0CB0028 000281F2
	v_add_u32_e32 v242, 64, v242                               // 0000000192C0: 69E5E4C0
	s_nop 0                                                    // 0000000192C4: BF800000
	v_cndmask_b32_e64 v134, v66, v134, s[40:41]                // 0000000192C8: D1000086 00A30D42
	v_cmp_le_u32_e64 s[40:41], v243, v64                       // 0000000192D0: D0CB0028 000281F3
	v_add_u32_e32 v243, 64, v243                               // 0000000192D8: 69E7E6C0
	s_nop 0                                                    // 0000000192DC: BF800000
	v_cndmask_b32_e64 v135, v66, v135, s[40:41]                // 0000000192E0: D1000087 00A30F42
	v_cmp_le_u32_e64 s[40:41], v240, v64                       // 0000000192E8: D0CB0028 000281F0
	v_add_u32_e32 v240, 64, v240                               // 0000000192F0: 69E1E0C0
	s_nop 0                                                    // 0000000192F4: BF800000
	v_cndmask_b32_e64 v136, v66, v136, s[40:41]                // 0000000192F8: D1000088 00A31142
	v_cmp_le_u32_e64 s[40:41], v241, v64                       // 000000019300: D0CB0028 000281F1
	v_add_u32_e32 v241, 64, v241                               // 000000019308: 69E3E2C0
	s_nop 0                                                    // 00000001930C: BF800000
	v_cndmask_b32_e64 v137, v66, v137, s[40:41]                // 000000019310: D1000089 00A31342
	v_cmp_le_u32_e64 s[40:41], v242, v64                       // 000000019318: D0CB0028 000281F2
	v_add_u32_e32 v242, 64, v242                               // 000000019320: 69E5E4C0
	s_nop 0                                                    // 000000019324: BF800000
	v_cndmask_b32_e64 v138, v66, v138, s[40:41]                // 000000019328: D100008A 00A31542
	v_cmp_le_u32_e64 s[40:41], v243, v64                       // 000000019330: D0CB0028 000281F3
	v_add_u32_e32 v243, 64, v243                               // 000000019338: 69E7E6C0
	s_nop 0                                                    // 00000001933C: BF800000
	v_cndmask_b32_e64 v139, v66, v139, s[40:41]                // 000000019340: D100008B 00A31742
	v_cmp_le_u32_e64 s[40:41], v240, v64                       // 000000019348: D0CB0028 000281F0
	v_add_u32_e32 v240, 64, v240                               // 000000019350: 69E1E0C0
	s_nop 0                                                    // 000000019354: BF800000
	v_cndmask_b32_e64 v140, v66, v140, s[40:41]                // 000000019358: D100008C 00A31942
	v_cmp_le_u32_e64 s[40:41], v241, v64                       // 000000019360: D0CB0028 000281F1
	v_add_u32_e32 v241, 64, v241                               // 000000019368: 69E3E2C0
	s_nop 0                                                    // 00000001936C: BF800000
	v_cndmask_b32_e64 v141, v66, v141, s[40:41]                // 000000019370: D100008D 00A31B42
	v_cmp_le_u32_e64 s[40:41], v242, v64                       // 000000019378: D0CB0028 000281F2
	v_add_u32_e32 v242, 64, v242                               // 000000019380: 69E5E4C0
	s_nop 0                                                    // 000000019384: BF800000
	v_cndmask_b32_e64 v142, v66, v142, s[40:41]                // 000000019388: D100008E 00A31D42
	v_cmp_le_u32_e64 s[40:41], v243, v64                       // 000000019390: D0CB0028 000281F3
	v_add_u32_e32 v243, 64, v243                               // 000000019398: 69E7E6C0
	s_nop 0                                                    // 00000001939C: BF800000
	v_cndmask_b32_e64 v143, v66, v143, s[40:41]                // 0000000193A0: D100008F 00A31F42

00000000000193a8 <label_5C6A>:
	s_and_b32 s60, s72, 0xff                                   // 0000000193A8: 863CFF48 000000FF
	v_mov_b32_e32 v65, s60                                     // 0000000193B0: 7E82023C
	v_lshrrev_b32_e32 v240, 4, v0                              // 0000000193B4: 21E00084
	v_mul_i32_i24_e32 v240, 4, v240                            // 0000000193B8: 0DE1E084
	s_mul_i32 s60, s7, 16                                      // 0000000193BC: 923C9007
	v_add_u32_e32 v240, s60, v240                              // 0000000193C0: 69E1E03C
	v_add_u32_e32 v241, 1, v240                                // 0000000193C4: 69E3E081
	v_add_u32_e32 v242, 2, v240                                // 0000000193C8: 69E5E082
	v_add_u32_e32 v243, 3, v240                                // 0000000193CC: 69E7E083
	v_mov_b32_e32 v64, 0xff800000                              // 0000000193D0: 7E8002FF FF800000
	v_cmp_lt_u32_e64 s[40:41], v240, v65                       // 0000000193D8: D0C90028 000283F0
	v_add_u32_e32 v240, 64, v240                               // 0000000193E0: 69E1E0C0
	s_nop 0                                                    // 0000000193E4: BF800000
	v_cndmask_b32_e64 v128, v64, v128, s[40:41]                // 0000000193E8: D1000080 00A30140
	v_cmp_lt_u32_e64 s[40:41], v241, v65                       // 0000000193F0: D0C90028 000283F1
	v_add_u32_e32 v241, 64, v241                               // 0000000193F8: 69E3E2C0
	s_nop 0                                                    // 0000000193FC: BF800000
	v_cndmask_b32_e64 v129, v64, v129, s[40:41]                // 000000019400: D1000081 00A30340
	v_cmp_lt_u32_e64 s[40:41], v242, v65                       // 000000019408: D0C90028 000283F2
	v_add_u32_e32 v242, 64, v242                               // 000000019410: 69E5E4C0
	s_nop 0                                                    // 000000019414: BF800000
	v_cndmask_b32_e64 v130, v64, v130, s[40:41]                // 000000019418: D1000082 00A30540
	v_cmp_lt_u32_e64 s[40:41], v243, v65                       // 000000019420: D0C90028 000283F3
	v_add_u32_e32 v243, 64, v243                               // 000000019428: 69E7E6C0
	s_nop 0                                                    // 00000001942C: BF800000
	v_cndmask_b32_e64 v131, v64, v131, s[40:41]                // 000000019430: D1000083 00A30740
	v_cmp_lt_u32_e64 s[40:41], v240, v65                       // 000000019438: D0C90028 000283F0
	v_add_u32_e32 v240, 64, v240                               // 000000019440: 69E1E0C0
	s_nop 0                                                    // 000000019444: BF800000
	v_cndmask_b32_e64 v132, v64, v132, s[40:41]                // 000000019448: D1000084 00A30940
	v_cmp_lt_u32_e64 s[40:41], v241, v65                       // 000000019450: D0C90028 000283F1
	v_add_u32_e32 v241, 64, v241                               // 000000019458: 69E3E2C0
	s_nop 0                                                    // 00000001945C: BF800000
	v_cndmask_b32_e64 v133, v64, v133, s[40:41]                // 000000019460: D1000085 00A30B40
	v_cmp_lt_u32_e64 s[40:41], v242, v65                       // 000000019468: D0C90028 000283F2
	v_add_u32_e32 v242, 64, v242                               // 000000019470: 69E5E4C0
	s_nop 0                                                    // 000000019474: BF800000
	v_cndmask_b32_e64 v134, v64, v134, s[40:41]                // 000000019478: D1000086 00A30D40
	v_cmp_lt_u32_e64 s[40:41], v243, v65                       // 000000019480: D0C90028 000283F3
	v_add_u32_e32 v243, 64, v243                               // 000000019488: 69E7E6C0
	s_nop 0                                                    // 00000001948C: BF800000
	v_cndmask_b32_e64 v135, v64, v135, s[40:41]                // 000000019490: D1000087 00A30F40
	v_cmp_lt_u32_e64 s[40:41], v240, v65                       // 000000019498: D0C90028 000283F0
	v_add_u32_e32 v240, 64, v240                               // 0000000194A0: 69E1E0C0
	s_nop 0                                                    // 0000000194A4: BF800000
	v_cndmask_b32_e64 v136, v64, v136, s[40:41]                // 0000000194A8: D1000088 00A31140
	v_cmp_lt_u32_e64 s[40:41], v241, v65                       // 0000000194B0: D0C90028 000283F1
	v_add_u32_e32 v241, 64, v241                               // 0000000194B8: 69E3E2C0
	s_nop 0                                                    // 0000000194BC: BF800000
	v_cndmask_b32_e64 v137, v64, v137, s[40:41]                // 0000000194C0: D1000089 00A31340
	v_cmp_lt_u32_e64 s[40:41], v242, v65                       // 0000000194C8: D0C90028 000283F2
	v_add_u32_e32 v242, 64, v242                               // 0000000194D0: 69E5E4C0
	s_nop 0                                                    // 0000000194D4: BF800000
	v_cndmask_b32_e64 v138, v64, v138, s[40:41]                // 0000000194D8: D100008A 00A31540
	v_cmp_lt_u32_e64 s[40:41], v243, v65                       // 0000000194E0: D0C90028 000283F3
	v_add_u32_e32 v243, 64, v243                               // 0000000194E8: 69E7E6C0
	s_nop 0                                                    // 0000000194EC: BF800000
	v_cndmask_b32_e64 v139, v64, v139, s[40:41]                // 0000000194F0: D100008B 00A31740
	v_cmp_lt_u32_e64 s[40:41], v240, v65                       // 0000000194F8: D0C90028 000283F0
	v_add_u32_e32 v240, 64, v240                               // 000000019500: 69E1E0C0
	s_nop 0                                                    // 000000019504: BF800000
	v_cndmask_b32_e64 v140, v64, v140, s[40:41]                // 000000019508: D100008C 00A31940
	v_cmp_lt_u32_e64 s[40:41], v241, v65                       // 000000019510: D0C90028 000283F1
	v_add_u32_e32 v241, 64, v241                               // 000000019518: 69E3E2C0
	s_nop 0                                                    // 00000001951C: BF800000
	v_cndmask_b32_e64 v141, v64, v141, s[40:41]                // 000000019520: D100008D 00A31B40
	v_cmp_lt_u32_e64 s[40:41], v242, v65                       // 000000019528: D0C90028 000283F2
	v_add_u32_e32 v242, 64, v242                               // 000000019530: 69E5E4C0
	s_nop 0                                                    // 000000019534: BF800000
	v_cndmask_b32_e64 v142, v64, v142, s[40:41]                // 000000019538: D100008E 00A31D40
	v_cmp_lt_u32_e64 s[40:41], v243, v65                       // 000000019540: D0C90028 000283F3
	v_add_u32_e32 v243, 64, v243                               // 000000019548: 69E7E6C0
	s_nop 0                                                    // 00000001954C: BF800000
	v_cndmask_b32_e64 v143, v64, v143, s[40:41]                // 000000019550: D100008F 00A31F40
	v_mov_b32_e32 v48, v128                                    // 000000019558: 7E600380
	v_max3_f32 v48, v128, v129, v48                            // 00000001955C: D1D30030 04C30380
	v_max3_f32 v48, v130, v131, v48                            // 000000019564: D1D30030 04C30782
	v_max3_f32 v48, v132, v133, v48                            // 00000001956C: D1D30030 04C30B84
	v_max3_f32 v48, v134, v135, v48                            // 000000019574: D1D30030 04C30F86
	v_max3_f32 v48, v136, v137, v48                            // 00000001957C: D1D30030 04C31388
	v_max3_f32 v48, v138, v139, v48                            // 000000019584: D1D30030 04C3178A
	v_max3_f32 v48, v140, v141, v48                            // 00000001958C: D1D30030 04C31B8C
	v_max3_f32 v48, v142, v143, v48                            // 000000019594: D1D30030 04C31F8E
	ds_write_b32 v8, v48 offset:16896                          // 00000001959C: D81A4200 00003008
	v_mul_f32_e32 v216, v50, v216                              // 0000000195A4: 0BB1B132
	v_mul_f32_e32 v217, v50, v217                              // 0000000195A8: 0BB3B332
	v_mul_f32_e32 v218, v50, v218                              // 0000000195AC: 0BB5B532
	v_mul_f32_e32 v219, v50, v219                              // 0000000195B0: 0BB7B732
	v_mul_f32_e32 v220, v50, v220                              // 0000000195B4: 0BB9B932
	v_mul_f32_e32 v221, v50, v221                              // 0000000195B8: 0BBBBB32
	v_mul_f32_e32 v222, v50, v222                              // 0000000195BC: 0BBDBD32
	v_mul_f32_e32 v223, v50, v223                              // 0000000195C0: 0BBFBF32
	s_waitcnt lgkmcnt(0)                                       // 0000000195C4: BF8CC07F
	s_barrier                                                  // 0000000195C8: BF8A0000
	ds_read_b32 v64, v7 offset:16896                           // 0000000195CC: D86C4200 40000007
	ds_read_b32 v65, v7 offset:16960                           // 0000000195D4: D86C4240 41000007
	ds_read_b32 v66, v7 offset:17024                           // 0000000195DC: D86C4280 42000007
	ds_read_b32 v67, v7 offset:17088                           // 0000000195E4: D86C42C0 43000007
	ds_read_b32 v68, v7 offset:17152                           // 0000000195EC: D86C4300 44000007
	ds_read_b32 v69, v7 offset:17216                           // 0000000195F4: D86C4340 45000007
	ds_read_b32 v70, v7 offset:17280                           // 0000000195FC: D86C4380 46000007
	ds_read_b32 v71, v7 offset:17344                           // 000000019604: D86C43C0 47000007
	ds_read_b32 v72, v7 offset:17408                           // 00000001960C: D86C4400 48000007
	ds_read_b32 v73, v7 offset:17472                           // 000000019614: D86C4440 49000007
	ds_read_b32 v74, v7 offset:17536                           // 00000001961C: D86C4480 4A000007
	ds_read_b32 v75, v7 offset:17600                           // 000000019624: D86C44C0 4B000007
	ds_read_b32 v76, v7 offset:17664                           // 00000001962C: D86C4500 4C000007
	ds_read_b32 v77, v7 offset:17728                           // 000000019634: D86C4540 4D000007
	ds_read_b32 v78, v7 offset:17792                           // 00000001963C: D86C4580 4E000007
	ds_read_b32 v79, v7 offset:17856                           // 000000019644: D86C45C0 4F000007
	v_mul_f32_e32 v184, v45, v184                              // 00000001964C: 0B71712D
	v_mul_f32_e32 v185, v45, v185                              // 000000019650: 0B73732D
	v_mul_f32_e32 v186, v45, v186                              // 000000019654: 0B75752D
	v_mul_f32_e32 v187, v45, v187                              // 000000019658: 0B77772D
	v_mul_f32_e32 v188, v45, v188                              // 00000001965C: 0B79792D
	v_mul_f32_e32 v189, v45, v189                              // 000000019660: 0B7B7B2D
	v_mul_f32_e32 v190, v45, v190                              // 000000019664: 0B7D7D2D
	v_mul_f32_e32 v191, v45, v191                              // 000000019668: 0B7F7F2D
	s_waitcnt lgkmcnt(0)                                       // 00000001966C: BF8CC07F
	v_max3_f32 v48, v64, v65, v48                              // 000000019670: D1D30030 04C28340
	v_max3_f32 v48, v66, v67, v48                              // 000000019678: D1D30030 04C28742
	v_max3_f32 v48, v68, v69, v48                              // 000000019680: D1D30030 04C28B44
	v_max3_f32 v48, v70, v71, v48                              // 000000019688: D1D30030 04C28F46
	v_max3_f32 v48, v72, v73, v48                              // 000000019690: D1D30030 04C29348
	v_max3_f32 v48, v74, v75, v48                              // 000000019698: D1D30030 04C2974A
	v_max3_f32 v48, v76, v77, v48                              // 0000000196A0: D1D30030 04C29B4C
	v_max3_f32 v48, v78, v79, v48                              // 0000000196A8: D1D30030 04C29F4E
	v_mov_b32_e32 v64, 0xff800000                              // 0000000196B0: 7E8002FF FF800000
	v_cmp_eq_u32_e64 s[40:41], v64, v12                        // 0000000196B8: D0CA0028 00021940
	s_nop 1                                                    // 0000000196C0: BF800001
	v_max_f32_e32 v15, v48, v12                                // 0000000196C4: 161E1930
	v_mul_f32_e32 v53, s64, v15                                // 0000000196C8: 0A6A1E40
	v_fma_f32 v128, v128, s64, -v53                            // 0000000196CC: D1CB0080 84D48180
	v_fma_f32 v129, v129, s64, -v53                            // 0000000196D4: D1CB0081 84D48181
	v_fma_f32 v130, v130, s64, -v53                            // 0000000196DC: D1CB0082 84D48182
	v_fma_f32 v131, v131, s64, -v53                            // 0000000196E4: D1CB0083 84D48183
	v_fma_f32 v132, v132, s64, -v53                            // 0000000196EC: D1CB0084 84D48184
	v_fma_f32 v133, v133, s64, -v53                            // 0000000196F4: D1CB0085 84D48185
	v_fma_f32 v134, v134, s64, -v53                            // 0000000196FC: D1CB0086 84D48186
	v_fma_f32 v135, v135, s64, -v53                            // 000000019704: D1CB0087 84D48187
	v_fma_f32 v136, v136, s64, -v53                            // 00000001970C: D1CB0088 84D48188
	v_fma_f32 v137, v137, s64, -v53                            // 000000019714: D1CB0089 84D48189
	v_fma_f32 v138, v138, s64, -v53                            // 00000001971C: D1CB008A 84D4818A
	v_fma_f32 v139, v139, s64, -v53                            // 000000019724: D1CB008B 84D4818B
	v_fma_f32 v140, v140, s64, -v53                            // 00000001972C: D1CB008C 84D4818C
	v_fma_f32 v141, v141, s64, -v53                            // 000000019734: D1CB008D 84D4818D
	v_fma_f32 v142, v142, s64, -v53                            // 00000001973C: D1CB008E 84D4818E
	v_fma_f32 v143, v143, s64, -v53                            // 000000019744: D1CB008F 84D4818F
	v_exp_f32_e32 v128, v128                                   // 00000001974C: 7F004180
	v_exp_f32_e32 v129, v129                                   // 000000019750: 7F024181
	v_exp_f32_e32 v130, v130                                   // 000000019754: 7F044182
	v_exp_f32_e32 v131, v131                                   // 000000019758: 7F064183
	v_exp_f32_e32 v132, v132                                   // 00000001975C: 7F084184
	v_exp_f32_e32 v133, v133                                   // 000000019760: 7F0A4185
	v_exp_f32_e32 v134, v134                                   // 000000019764: 7F0C4186
	v_exp_f32_e32 v135, v135                                   // 000000019768: 7F0E4187
	v_exp_f32_e32 v136, v136                                   // 00000001976C: 7F104188
	v_exp_f32_e32 v137, v137                                   // 000000019770: 7F124189
	v_exp_f32_e32 v138, v138                                   // 000000019774: 7F14418A
	v_exp_f32_e32 v139, v139                                   // 000000019778: 7F16418B
	v_exp_f32_e32 v140, v140                                   // 00000001977C: 7F18418C
	v_exp_f32_e32 v141, v141                                   // 000000019780: 7F1A418D
	v_exp_f32_e32 v142, v142                                   // 000000019784: 7F1C418E
	v_exp_f32_e32 v143, v143                                   // 000000019788: 7F1E418F
	v_mul_f32_dpp v240, v252, v128 quad_perm:[0,0,0,0] row_mask:0xf bank_mask:0xf// 00000001978C: 0BE100FA FF0000FC
	v_mul_f32_dpp v241, v252, v129 quad_perm:[1,1,1,1] row_mask:0xf bank_mask:0xf// 000000019794: 0BE302FA FF0055FC
	v_mul_f32_dpp v242, v252, v130 quad_perm:[2,2,2,2] row_mask:0xf bank_mask:0xf// 00000001979C: 0BE504FA FF00AAFC
	v_mul_f32_dpp v243, v252, v131 quad_perm:[3,3,3,3] row_mask:0xf bank_mask:0xf// 0000000197A4: 0BE706FA FF00FFFC
	v_mul_f32_dpp v244, v253, v132 quad_perm:[0,0,0,0] row_mask:0xf bank_mask:0xf// 0000000197AC: 0BE908FA FF0000FD
	v_mul_f32_dpp v245, v253, v133 quad_perm:[1,1,1,1] row_mask:0xf bank_mask:0xf// 0000000197B4: 0BEB0AFA FF0055FD
	v_mul_f32_dpp v246, v253, v134 quad_perm:[2,2,2,2] row_mask:0xf bank_mask:0xf// 0000000197BC: 0BED0CFA FF00AAFD
	v_mul_f32_dpp v247, v253, v135 quad_perm:[3,3,3,3] row_mask:0xf bank_mask:0xf// 0000000197C4: 0BEF0EFA FF00FFFD
	v_mul_f32_dpp v248, v254, v136 quad_perm:[0,0,0,0] row_mask:0xf bank_mask:0xf// 0000000197CC: 0BF110FA FF0000FE
	v_mul_f32_dpp v249, v254, v137 quad_perm:[1,1,1,1] row_mask:0xf bank_mask:0xf// 0000000197D4: 0BF312FA FF0055FE
	v_mul_f32_dpp v250, v254, v138 quad_perm:[2,2,2,2] row_mask:0xf bank_mask:0xf// 0000000197DC: 0BF514FA FF00AAFE
	v_mul_f32_dpp v251, v254, v139 quad_perm:[3,3,3,3] row_mask:0xf bank_mask:0xf// 0000000197E4: 0BF716FA FF00FFFE
	v_mul_f32_dpp v252, v255, v140 quad_perm:[0,0,0,0] row_mask:0xf bank_mask:0xf// 0000000197EC: 0BF918FA FF0000FF
	v_mul_f32_dpp v253, v255, v141 quad_perm:[1,1,1,1] row_mask:0xf bank_mask:0xf// 0000000197F4: 0BFB1AFA FF0055FF
	v_mul_f32_dpp v254, v255, v142 quad_perm:[2,2,2,2] row_mask:0xf bank_mask:0xf// 0000000197FC: 0BFD1CFA FF00AAFF
	v_mul_f32_dpp v255, v255, v143 quad_perm:[3,3,3,3] row_mask:0xf bank_mask:0xf// 000000019804: 0BFF1EFA FF00FFFF
	v_mov_b32_e32 v48, 0x358637bd                              // 00000001980C: 7E6002FF 358637BD
	v_max3_f32 v48, |v240|, |v241|, v48                        // 000000019814: D1D30330 04C3E3F0
	v_max3_f32 v48, |v242|, |v243|, v48                        // 00000001981C: D1D30330 04C3E7F2
	v_max3_f32 v48, |v244|, |v245|, v48                        // 000000019824: D1D30330 04C3EBF4
	v_max3_f32 v48, |v246|, |v247|, v48                        // 00000001982C: D1D30330 04C3EFF6
	v_max3_f32 v48, |v248|, |v249|, v48                        // 000000019834: D1D30330 04C3F3F8
	v_max3_f32 v48, |v250|, |v251|, v48                        // 00000001983C: D1D30330 04C3F7FA
	v_max3_f32 v48, |v252|, |v253|, v48                        // 000000019844: D1D30330 04C3FBFC
	v_max3_f32 v48, |v254|, |v255|, v48                        // 00000001984C: D1D30330 04C3FFFE
	ds_write_b32 v8, v48 offset:20992                          // 000000019854: D81A5200 00003008
	v_sub_f32_e32 v50, v12, v15                                // 00000001985C: 04641F0C
	v_cndmask_b32_e64 v50, v50, 0, s[40:41]                    // 000000019860: D1000032 00A10132
	v_mov_b32_e32 v12, v15                                     // 000000019868: 7E18030F
	v_mul_f32_e32 v50, s64, v50                                // 00000001986C: 0A646440
	v_exp_f32_e32 v50, v50                                     // 000000019870: 7E644132
	s_waitcnt lgkmcnt(0)                                       // 000000019874: BF8CC07F
	s_barrier                                                  // 000000019878: BF8A0000
	ds_read_b32 v64, v7 offset:20992                           // 00000001987C: D86C5200 40000007
	ds_read_b32 v65, v7 offset:21056                           // 000000019884: D86C5240 41000007
	ds_read_b32 v66, v7 offset:21120                           // 00000001988C: D86C5280 42000007
	ds_read_b32 v67, v7 offset:21184                           // 000000019894: D86C52C0 43000007
	ds_read_b32 v68, v7 offset:21248                           // 00000001989C: D86C5300 44000007
	ds_read_b32 v69, v7 offset:21312                           // 0000000198A4: D86C5340 45000007
	ds_read_b32 v70, v7 offset:21376                           // 0000000198AC: D86C5380 46000007
	ds_read_b32 v71, v7 offset:21440                           // 0000000198B4: D86C53C0 47000007
	ds_read_b32 v72, v7 offset:21504                           // 0000000198BC: D86C5400 48000007
	ds_read_b32 v73, v7 offset:21568                           // 0000000198C4: D86C5440 49000007
	ds_read_b32 v74, v7 offset:21632                           // 0000000198CC: D86C5480 4A000007
	ds_read_b32 v75, v7 offset:21696                           // 0000000198D4: D86C54C0 4B000007
	ds_read_b32 v76, v7 offset:21760                           // 0000000198DC: D86C5500 4C000007
	ds_read_b32 v77, v7 offset:21824                           // 0000000198E4: D86C5540 4D000007
	ds_read_b32 v78, v7 offset:21888                           // 0000000198EC: D86C5580 4E000007
	ds_read_b32 v79, v7 offset:21952                           // 0000000198F4: D86C55C0 4F000007
	v_mul_f32_e32 v39, v50, v39                                // 0000000198FC: 0A4E4F32
	v_mov_b32_e32 v15, v128                                    // 000000019900: 7E1E0380
	v_add_f32_e32 v15, v129, v15                               // 000000019904: 021E1F81
	v_add_f32_e32 v15, v130, v15                               // 000000019908: 021E1F82
	v_add_f32_e32 v15, v131, v15                               // 00000001990C: 021E1F83
	v_add_f32_e32 v15, v132, v15                               // 000000019910: 021E1F84
	v_add_f32_e32 v15, v133, v15                               // 000000019914: 021E1F85
	v_add_f32_e32 v15, v134, v15                               // 000000019918: 021E1F86
	v_add_f32_e32 v15, v135, v15                               // 00000001991C: 021E1F87
	v_add_f32_e32 v15, v136, v15                               // 000000019920: 021E1F88
	v_add_f32_e32 v15, v137, v15                               // 000000019924: 021E1F89
	v_add_f32_e32 v15, v138, v15                               // 000000019928: 021E1F8A
	v_add_f32_e32 v15, v139, v15                               // 00000001992C: 021E1F8B
	v_add_f32_e32 v15, v140, v15                               // 000000019930: 021E1F8C
	v_add_f32_e32 v15, v141, v15                               // 000000019934: 021E1F8D
	v_add_f32_e32 v15, v142, v15                               // 000000019938: 021E1F8E
	v_add_f32_e32 v15, v143, v15                               // 00000001993C: 021E1F8F
	v_add_f32_e32 v39, v15, v39                                // 000000019940: 024E4F0F
	s_waitcnt lgkmcnt(0)                                       // 000000019944: BF8CC07F
	v_max3_f32 v48, |v64|, |v65|, v48                          // 000000019948: D1D30330 04C28340
	v_max3_f32 v48, |v66|, |v67|, v48                          // 000000019950: D1D30330 04C28742
	v_max3_f32 v48, |v68|, |v69|, v48                          // 000000019958: D1D30330 04C28B44
	v_max3_f32 v48, |v70|, |v71|, v48                          // 000000019960: D1D30330 04C28F46
	v_max3_f32 v48, |v72|, |v73|, v48                          // 000000019968: D1D30330 04C29348
	v_max3_f32 v48, |v74|, |v75|, v48                          // 000000019970: D1D30330 04C2974A
	v_max3_f32 v48, |v76|, |v77|, v48                          // 000000019978: D1D30330 04C29B4C
	v_max3_f32 v48, |v78|, |v79|, v48                          // 000000019980: D1D30330 04C29F4E
	s_nop 2                                                    // 000000019988: BF800002
	v_rcp_f32_e32 v48, v48                                     // 00000001998C: 7E604530
	s_nop 1                                                    // 000000019990: BF800001
	v_mul_f32_e32 v48, 0x43e00000, v48                         // 000000019994: 0A6060FF 43E00000
	v_mul_f32_e32 v128, v48, v240                              // 00000001999C: 0B01E130
	v_mul_f32_e32 v129, v48, v241                              // 0000000199A0: 0B03E330
	v_mul_f32_e32 v130, v48, v242                              // 0000000199A4: 0B05E530
	v_mul_f32_e32 v131, v48, v243                              // 0000000199A8: 0B07E730
	v_mul_f32_e32 v132, v48, v244                              // 0000000199AC: 0B09E930
	v_mul_f32_e32 v133, v48, v245                              // 0000000199B0: 0B0BEB30
	v_mul_f32_e32 v134, v48, v246                              // 0000000199B4: 0B0DED30
	v_mul_f32_e32 v135, v48, v247                              // 0000000199B8: 0B0FEF30
	v_mul_f32_e32 v136, v48, v248                              // 0000000199BC: 0B11F130
	v_mul_f32_e32 v137, v48, v249                              // 0000000199C0: 0B13F330
	v_mul_f32_e32 v138, v48, v250                              // 0000000199C4: 0B15F530
	v_mul_f32_e32 v139, v48, v251                              // 0000000199C8: 0B17F730
	v_mul_f32_e32 v140, v48, v252                              // 0000000199CC: 0B19F930
	v_mul_f32_e32 v141, v48, v253                              // 0000000199D0: 0B1BFB30
	v_mul_f32_e32 v142, v48, v254                              // 0000000199D4: 0B1DFD30
	v_mul_f32_e32 v143, v48, v255                              // 0000000199D8: 0B1FFF30
	v_cvt_pk_fp8_f32 v128, v128, v129                          // 0000000199DC: D2A20080 00030380
	v_cvt_pk_fp8_f32 v128, v130, v131 op_sel:[0,0,1]           // 0000000199E4: D2A24080 00030782
	v_cvt_pk_fp8_f32 v129, v132, v133                          // 0000000199EC: D2A20081 00030B84
	v_cvt_pk_fp8_f32 v129, v134, v135 op_sel:[0,0,1]           // 0000000199F4: D2A24081 00030F86
	v_cvt_pk_fp8_f32 v130, v136, v137                          // 0000000199FC: D2A20082 00031388
	v_cvt_pk_fp8_f32 v130, v138, v139 op_sel:[0,0,1]           // 000000019A04: D2A24082 0003178A
	v_cvt_pk_fp8_f32 v131, v140, v141                          // 000000019A0C: D2A20083 00031B8C
	v_cvt_pk_fp8_f32 v131, v142, v143 op_sel:[0,0,1]           // 000000019A14: D2A24083 00031F8E
	ds_write_b32 v10, v128 offset:29184                        // 000000019A1C: D81A7200 0000800A
	ds_write_b32 v10, v129 offset:30208                        // 000000019A24: D81A7600 0000810A
	ds_write_b32 v10, v130 offset:31232                        // 000000019A2C: D81A7A00 0000820A
	ds_write_b32 v10, v131 offset:32256                        // 000000019A34: D81A7E00 0000830A
	v_add_f32_e32 v216, v216, v184                             // 000000019A3C: 03B171D8
	v_add_f32_e32 v217, v217, v185                             // 000000019A40: 03B373D9
	v_add_f32_e32 v218, v218, v186                             // 000000019A44: 03B575DA
	v_add_f32_e32 v219, v219, v187                             // 000000019A48: 03B777DB
	v_add_f32_e32 v220, v220, v188                             // 000000019A4C: 03B979DC
	v_add_f32_e32 v221, v221, v189                             // 000000019A50: 03BB7BDD
	v_add_f32_e32 v222, v222, v190                             // 000000019A54: 03BD7DDE
	v_add_f32_e32 v223, v223, v191                             // 000000019A58: 03BF7FDF
	v_rcp_f32_e32 v45, v48                                     // 000000019A5C: 7E5A4530
	s_waitcnt lgkmcnt(0)                                       // 000000019A60: BF8CC07F
	s_barrier                                                  // 000000019A64: BF8A0000
	ds_read_b64 v[128:129], v9 offset:29184                    // 000000019A68: D8EC7200 80000009
	ds_read_b64 v[130:131], v9 offset:29312                    // 000000019A70: D8EC7280 82000009
	ds_read_b64 v[132:133], v9 offset:30208                    // 000000019A78: D8EC7600 84000009
	ds_read_b64 v[134:135], v9 offset:30336                    // 000000019A80: D8EC7680 86000009
	ds_read_b64 v[136:137], v9 offset:31232                    // 000000019A88: D8EC7A00 88000009
	ds_read_b64 v[138:139], v9 offset:31360                    // 000000019A90: D8EC7A80 8A000009
	ds_read_b64 v[140:141], v9 offset:32256                    // 000000019A98: D8EC7E00 8C000009
	ds_read_b64 v[142:143], v9 offset:32384                    // 000000019AA0: D8EC7E80 8E000009
	v_mov_b32_dpp v64, v42 row_shr:4 row_mask:0xf bank_mask:0xf// 000000019AA8: 7E8002FA FF01142A
	v_mov_b32_dpp v65, v42 row_shl:4 row_mask:0xf bank_mask:0xf// 000000019AB0: 7E8202FA FF01042A
	v_cndmask_b32_e64 v248, v42, v64, s[44:45]                 // 000000019AB8: D10000F8 00B2812A
	v_cndmask_b32_e64 v249, v65, v42, s[44:45]                 // 000000019AC0: D10000F9 00B25541
	v_mov_b32_dpp v64, v248 row_shr:8 row_mask:0xf bank_mask:0xf// 000000019AC8: 7E8002FA FF0118F8
	v_mov_b32_dpp v65, v248 row_shl:8 row_mask:0xf bank_mask:0xf// 000000019AD0: 7E8202FA FF0108F8
	v_mov_b32_dpp v66, v249 row_shr:8 row_mask:0xf bank_mask:0xf// 000000019AD8: 7E8402FA FF0118F9
	v_mov_b32_dpp v67, v249 row_shl:8 row_mask:0xf bank_mask:0xf// 000000019AE0: 7E8602FA FF0108F9
	v_mov_b32_e32 v68, v248                                    // 000000019AE8: 7E8803F8
	v_mov_b32_e32 v69, v249                                    // 000000019AEC: 7E8A03F9
	v_cndmask_b32_e64 v248, v68, v64, s[42:43]                 // 000000019AF0: D10000F8 00AA8144
	v_cndmask_b32_e64 v250, v68, v65, s[78:79]                 // 000000019AF8: D10000FA 013A8344
	v_cndmask_b32_e64 v249, v69, v66, s[42:43]                 // 000000019B00: D10000F9 00AA8545
	v_cndmask_b32_e64 v251, v69, v67, s[78:79]                 // 000000019B08: D10000FB 013A8745
	v_mov_b32_dpp v64, v57 row_shr:4 row_mask:0xf bank_mask:0xf// 000000019B10: 7E8002FA FF011439
	v_mov_b32_dpp v65, v57 row_shl:4 row_mask:0xf bank_mask:0xf// 000000019B18: 7E8202FA FF010439
	v_cndmask_b32_e64 v252, v57, v64, s[44:45]                 // 000000019B20: D10000FC 00B28139
	v_cndmask_b32_e64 v253, v65, v57, s[44:45]                 // 000000019B28: D10000FD 00B27341
	v_mov_b32_dpp v64, v252 row_shr:8 row_mask:0xf bank_mask:0xf// 000000019B30: 7E8002FA FF0118FC
	v_mov_b32_dpp v65, v252 row_shl:8 row_mask:0xf bank_mask:0xf// 000000019B38: 7E8202FA FF0108FC
	v_mov_b32_dpp v66, v253 row_shr:8 row_mask:0xf bank_mask:0xf// 000000019B40: 7E8402FA FF0118FD
	v_mov_b32_dpp v67, v253 row_shl:8 row_mask:0xf bank_mask:0xf// 000000019B48: 7E8602FA FF0108FD
	v_mov_b32_e32 v68, v252                                    // 000000019B50: 7E8803FC
	v_mov_b32_e32 v69, v253                                    // 000000019B54: 7E8A03FD
	v_cndmask_b32_e64 v252, v68, v64, s[42:43]                 // 000000019B58: D10000FC 00AA8144
	v_cndmask_b32_e64 v254, v68, v65, s[78:79]                 // 000000019B60: D10000FE 013A8344
	v_cndmask_b32_e64 v253, v69, v66, s[42:43]                 // 000000019B68: D10000FD 00AA8545
	v_cndmask_b32_e64 v255, v69, v67, s[78:79]                 // 000000019B70: D10000FF 013A8745
	v_mul_f32_e32 v144, v20, v144                              // 000000019B78: 0B212114
	v_mul_f32_e32 v145, v20, v145                              // 000000019B7C: 0B232314
	v_mul_f32_e32 v146, v20, v146                              // 000000019B80: 0B252514
	v_mul_f32_e32 v147, v20, v147                              // 000000019B84: 0B272714
	v_mul_f32_e32 v148, v20, v148                              // 000000019B88: 0B292914
	v_mul_f32_e32 v149, v20, v149                              // 000000019B8C: 0B2B2B14
	v_mul_f32_e32 v150, v20, v150                              // 000000019B90: 0B2D2D14
	v_mul_f32_e32 v151, v20, v151                              // 000000019B94: 0B2F2F14
	v_mul_f32_e32 v152, v20, v152                              // 000000019B98: 0B313114
	v_mul_f32_e32 v153, v20, v153                              // 000000019B9C: 0B333314
	v_mul_f32_e32 v154, v20, v154                              // 000000019BA0: 0B353514
	v_mul_f32_e32 v155, v20, v155                              // 000000019BA4: 0B373714
	v_mul_f32_e32 v156, v20, v156                              // 000000019BA8: 0B393914
	v_mul_f32_e32 v157, v20, v157                              // 000000019BAC: 0B3B3B14
	v_mul_f32_e32 v158, v20, v158                              // 000000019BB0: 0B3D3D14
	v_mul_f32_e32 v159, v20, v159                              // 000000019BB4: 0B3F3F14
	v_mul_f32_dpp v144, v248, v144 quad_perm:[0,0,0,0] row_mask:0xf bank_mask:0xf// 000000019BB8: 0B2120FA FF0000F8
	v_mul_f32_dpp v145, v248, v145 quad_perm:[1,1,1,1] row_mask:0xf bank_mask:0xf// 000000019BC0: 0B2322FA FF0055F8
	v_mul_f32_dpp v146, v248, v146 quad_perm:[2,2,2,2] row_mask:0xf bank_mask:0xf// 000000019BC8: 0B2524FA FF00AAF8
	v_mul_f32_dpp v147, v248, v147 quad_perm:[3,3,3,3] row_mask:0xf bank_mask:0xf// 000000019BD0: 0B2726FA FF00FFF8
	v_mul_f32_dpp v148, v249, v148 quad_perm:[0,0,0,0] row_mask:0xf bank_mask:0xf// 000000019BD8: 0B2928FA FF0000F9
	v_mul_f32_dpp v149, v249, v149 quad_perm:[1,1,1,1] row_mask:0xf bank_mask:0xf// 000000019BE0: 0B2B2AFA FF0055F9
	v_mul_f32_dpp v150, v249, v150 quad_perm:[2,2,2,2] row_mask:0xf bank_mask:0xf// 000000019BE8: 0B2D2CFA FF00AAF9
	v_mul_f32_dpp v151, v249, v151 quad_perm:[3,3,3,3] row_mask:0xf bank_mask:0xf// 000000019BF0: 0B2F2EFA FF00FFF9
	v_mul_f32_dpp v152, v250, v152 quad_perm:[0,0,0,0] row_mask:0xf bank_mask:0xf// 000000019BF8: 0B3130FA FF0000FA
	v_mul_f32_dpp v153, v250, v153 quad_perm:[1,1,1,1] row_mask:0xf bank_mask:0xf// 000000019C00: 0B3332FA FF0055FA
	v_mul_f32_dpp v154, v250, v154 quad_perm:[2,2,2,2] row_mask:0xf bank_mask:0xf// 000000019C08: 0B3534FA FF00AAFA
	v_mul_f32_dpp v155, v250, v155 quad_perm:[3,3,3,3] row_mask:0xf bank_mask:0xf// 000000019C10: 0B3736FA FF00FFFA
	v_mul_f32_dpp v156, v251, v156 quad_perm:[0,0,0,0] row_mask:0xf bank_mask:0xf// 000000019C18: 0B3938FA FF0000FB
	v_mul_f32_dpp v157, v251, v157 quad_perm:[1,1,1,1] row_mask:0xf bank_mask:0xf// 000000019C20: 0B3B3AFA FF0055FB
	v_mul_f32_dpp v158, v251, v158 quad_perm:[2,2,2,2] row_mask:0xf bank_mask:0xf// 000000019C28: 0B3D3CFA FF00AAFB
	v_mul_f32_dpp v159, v251, v159 quad_perm:[3,3,3,3] row_mask:0xf bank_mask:0xf// 000000019C30: 0B3F3EFA FF00FFFB
	s_cmp_le_i32 s90, s89                                      // 000000019C38: BF05595A
	s_cbranch_scc1 label_5F01                                  // 000000019C3C: BF850071
	v_mov_b32_e32 v66, 0xff800000                              // 000000019C40: 7E8402FF FF800000
	s_mov_b32 s60, s90                                         // 000000019C48: BEBC005A
	s_add_u32 s61, s89, 0xff                                   // 000000019C4C: 803DFF59 000000FF
	v_mov_b32_e32 v64, s61                                     // 000000019C54: 7E80023D
	v_lshrrev_b32_e32 v240, 4, v0                              // 000000019C58: 21E00084
	v_mul_i32_i24_e32 v240, 4, v240                            // 000000019C5C: 0DE1E084
	v_add_u32_e32 v240, s60, v240                              // 000000019C60: 69E1E03C
	s_mov_b32 s61, 2                                           // 000000019C64: BEBD0082
	s_mul_i32 s60, 16, s7                                      // 000000019C68: 923C0790
	v_sub_u32_e64 v240, v240, s61                              // 000000019C6C: D13500F0 00007BF0
	v_add_u32_e32 v240, s60, v240                              // 000000019C74: 69E1E03C
	v_add_u32_e32 v241, 1, v240                                // 000000019C78: 69E3E081
	v_add_u32_e32 v242, 2, v240                                // 000000019C7C: 69E5E082
	v_add_u32_e32 v243, 3, v240                                // 000000019C80: 69E7E083
	v_cmp_le_u32_e64 s[40:41], v240, v64                       // 000000019C84: D0CB0028 000281F0
	v_add_u32_e32 v240, 64, v240                               // 000000019C8C: 69E1E0C0
	s_nop 0                                                    // 000000019C90: BF800000
	v_cndmask_b32_e64 v144, v66, v144, s[40:41]                // 000000019C94: D1000090 00A32142
	v_cmp_le_u32_e64 s[40:41], v241, v64                       // 000000019C9C: D0CB0028 000281F1
	v_add_u32_e32 v241, 64, v241                               // 000000019CA4: 69E3E2C0
	s_nop 0                                                    // 000000019CA8: BF800000
	v_cndmask_b32_e64 v145, v66, v145, s[40:41]                // 000000019CAC: D1000091 00A32342
	v_cmp_le_u32_e64 s[40:41], v242, v64                       // 000000019CB4: D0CB0028 000281F2
	v_add_u32_e32 v242, 64, v242                               // 000000019CBC: 69E5E4C0
	s_nop 0                                                    // 000000019CC0: BF800000
	v_cndmask_b32_e64 v146, v66, v146, s[40:41]                // 000000019CC4: D1000092 00A32542
	v_cmp_le_u32_e64 s[40:41], v243, v64                       // 000000019CCC: D0CB0028 000281F3
	v_add_u32_e32 v243, 64, v243                               // 000000019CD4: 69E7E6C0
	s_nop 0                                                    // 000000019CD8: BF800000
	v_cndmask_b32_e64 v147, v66, v147, s[40:41]                // 000000019CDC: D1000093 00A32742
	v_cmp_le_u32_e64 s[40:41], v240, v64                       // 000000019CE4: D0CB0028 000281F0
	v_add_u32_e32 v240, 64, v240                               // 000000019CEC: 69E1E0C0
	s_nop 0                                                    // 000000019CF0: BF800000
	v_cndmask_b32_e64 v148, v66, v148, s[40:41]                // 000000019CF4: D1000094 00A32942
	v_cmp_le_u32_e64 s[40:41], v241, v64                       // 000000019CFC: D0CB0028 000281F1
	v_add_u32_e32 v241, 64, v241                               // 000000019D04: 69E3E2C0
	s_nop 0                                                    // 000000019D08: BF800000
	v_cndmask_b32_e64 v149, v66, v149, s[40:41]                // 000000019D0C: D1000095 00A32B42
	v_cmp_le_u32_e64 s[40:41], v242, v64                       // 000000019D14: D0CB0028 000281F2
	v_add_u32_e32 v242, 64, v242                               // 000000019D1C: 69E5E4C0
	s_nop 0                                                    // 000000019D20: BF800000
	v_cndmask_b32_e64 v150, v66, v150, s[40:41]                // 000000019D24: D1000096 00A32D42
	v_cmp_le_u32_e64 s[40:41], v243, v64                       // 000000019D2C: D0CB0028 000281F3
	v_add_u32_e32 v243, 64, v243                               // 000000019D34: 69E7E6C0
	s_nop 0                                                    // 000000019D38: BF800000
	v_cndmask_b32_e64 v151, v66, v151, s[40:41]                // 000000019D3C: D1000097 00A32F42
	v_cmp_le_u32_e64 s[40:41], v240, v64                       // 000000019D44: D0CB0028 000281F0
	v_add_u32_e32 v240, 64, v240                               // 000000019D4C: 69E1E0C0
	s_nop 0                                                    // 000000019D50: BF800000
	v_cndmask_b32_e64 v152, v66, v152, s[40:41]                // 000000019D54: D1000098 00A33142
	v_cmp_le_u32_e64 s[40:41], v241, v64                       // 000000019D5C: D0CB0028 000281F1
	v_add_u32_e32 v241, 64, v241                               // 000000019D64: 69E3E2C0
	s_nop 0                                                    // 000000019D68: BF800000
	v_cndmask_b32_e64 v153, v66, v153, s[40:41]                // 000000019D6C: D1000099 00A33342
	v_cmp_le_u32_e64 s[40:41], v242, v64                       // 000000019D74: D0CB0028 000281F2
	v_add_u32_e32 v242, 64, v242                               // 000000019D7C: 69E5E4C0
	s_nop 0                                                    // 000000019D80: BF800000
	v_cndmask_b32_e64 v154, v66, v154, s[40:41]                // 000000019D84: D100009A 00A33542
	v_cmp_le_u32_e64 s[40:41], v243, v64                       // 000000019D8C: D0CB0028 000281F3
	v_add_u32_e32 v243, 64, v243                               // 000000019D94: 69E7E6C0
	s_nop 0                                                    // 000000019D98: BF800000
	v_cndmask_b32_e64 v155, v66, v155, s[40:41]                // 000000019D9C: D100009B 00A33742
	v_cmp_le_u32_e64 s[40:41], v240, v64                       // 000000019DA4: D0CB0028 000281F0
	v_add_u32_e32 v240, 64, v240                               // 000000019DAC: 69E1E0C0
	s_nop 0                                                    // 000000019DB0: BF800000
	v_cndmask_b32_e64 v156, v66, v156, s[40:41]                // 000000019DB4: D100009C 00A33942
	v_cmp_le_u32_e64 s[40:41], v241, v64                       // 000000019DBC: D0CB0028 000281F1
	v_add_u32_e32 v241, 64, v241                               // 000000019DC4: 69E3E2C0
	s_nop 0                                                    // 000000019DC8: BF800000
	v_cndmask_b32_e64 v157, v66, v157, s[40:41]                // 000000019DCC: D100009D 00A33B42
	v_cmp_le_u32_e64 s[40:41], v242, v64                       // 000000019DD4: D0CB0028 000281F2
	v_add_u32_e32 v242, 64, v242                               // 000000019DDC: 69E5E4C0
	s_nop 0                                                    // 000000019DE0: BF800000
	v_cndmask_b32_e64 v158, v66, v158, s[40:41]                // 000000019DE4: D100009E 00A33D42
	v_cmp_le_u32_e64 s[40:41], v243, v64                       // 000000019DEC: D0CB0028 000281F3
	v_add_u32_e32 v243, 64, v243                               // 000000019DF4: 69E7E6C0
	s_nop 0                                                    // 000000019DF8: BF800000
	v_cndmask_b32_e64 v159, v66, v159, s[40:41]                // 000000019DFC: D100009F 00A33F42

0000000000019e04 <label_5F01>:
	s_add_u32 s90, s91, s90                                    // 000000019E04: 805A5A5B
	s_and_b32 s60, s72, 0xff                                   // 000000019E08: 863CFF48 000000FF
	v_mov_b32_e32 v65, s60                                     // 000000019E10: 7E82023C
	v_lshrrev_b32_e32 v240, 4, v0                              // 000000019E14: 21E00084
	v_mul_i32_i24_e32 v240, 4, v240                            // 000000019E18: 0DE1E084
	s_mul_i32 s60, s7, 16                                      // 000000019E1C: 923C9007
	v_add_u32_e32 v240, s60, v240                              // 000000019E20: 69E1E03C
	v_add_u32_e32 v241, 1, v240                                // 000000019E24: 69E3E081
	v_add_u32_e32 v242, 2, v240                                // 000000019E28: 69E5E082
	v_add_u32_e32 v243, 3, v240                                // 000000019E2C: 69E7E083
	v_mov_b32_e32 v64, 0xff800000                              // 000000019E30: 7E8002FF FF800000
	v_cmp_lt_u32_e64 s[40:41], v240, v65                       // 000000019E38: D0C90028 000283F0
	v_add_u32_e32 v240, 64, v240                               // 000000019E40: 69E1E0C0
	s_nop 0                                                    // 000000019E44: BF800000
	v_cndmask_b32_e64 v144, v64, v144, s[40:41]                // 000000019E48: D1000090 00A32140
	v_cmp_lt_u32_e64 s[40:41], v241, v65                       // 000000019E50: D0C90028 000283F1
	v_add_u32_e32 v241, 64, v241                               // 000000019E58: 69E3E2C0
	s_nop 0                                                    // 000000019E5C: BF800000
	v_cndmask_b32_e64 v145, v64, v145, s[40:41]                // 000000019E60: D1000091 00A32340
	v_cmp_lt_u32_e64 s[40:41], v242, v65                       // 000000019E68: D0C90028 000283F2
	v_add_u32_e32 v242, 64, v242                               // 000000019E70: 69E5E4C0
	s_nop 0                                                    // 000000019E74: BF800000
	v_cndmask_b32_e64 v146, v64, v146, s[40:41]                // 000000019E78: D1000092 00A32540
	v_cmp_lt_u32_e64 s[40:41], v243, v65                       // 000000019E80: D0C90028 000283F3
	v_add_u32_e32 v243, 64, v243                               // 000000019E88: 69E7E6C0
	s_nop 0                                                    // 000000019E8C: BF800000
	v_cndmask_b32_e64 v147, v64, v147, s[40:41]                // 000000019E90: D1000093 00A32740
	v_cmp_lt_u32_e64 s[40:41], v240, v65                       // 000000019E98: D0C90028 000283F0
	v_add_u32_e32 v240, 64, v240                               // 000000019EA0: 69E1E0C0
	s_nop 0                                                    // 000000019EA4: BF800000
	v_cndmask_b32_e64 v148, v64, v148, s[40:41]                // 000000019EA8: D1000094 00A32940
	v_cmp_lt_u32_e64 s[40:41], v241, v65                       // 000000019EB0: D0C90028 000283F1
	v_add_u32_e32 v241, 64, v241                               // 000000019EB8: 69E3E2C0
	s_nop 0                                                    // 000000019EBC: BF800000
	v_cndmask_b32_e64 v149, v64, v149, s[40:41]                // 000000019EC0: D1000095 00A32B40
	v_cmp_lt_u32_e64 s[40:41], v242, v65                       // 000000019EC8: D0C90028 000283F2
	v_add_u32_e32 v242, 64, v242                               // 000000019ED0: 69E5E4C0
	s_nop 0                                                    // 000000019ED4: BF800000
	v_cndmask_b32_e64 v150, v64, v150, s[40:41]                // 000000019ED8: D1000096 00A32D40
	v_cmp_lt_u32_e64 s[40:41], v243, v65                       // 000000019EE0: D0C90028 000283F3
	v_add_u32_e32 v243, 64, v243                               // 000000019EE8: 69E7E6C0
	s_nop 0                                                    // 000000019EEC: BF800000
	v_cndmask_b32_e64 v151, v64, v151, s[40:41]                // 000000019EF0: D1000097 00A32F40
	v_cmp_lt_u32_e64 s[40:41], v240, v65                       // 000000019EF8: D0C90028 000283F0
	v_add_u32_e32 v240, 64, v240                               // 000000019F00: 69E1E0C0
	s_nop 0                                                    // 000000019F04: BF800000
	v_cndmask_b32_e64 v152, v64, v152, s[40:41]                // 000000019F08: D1000098 00A33140
	v_cmp_lt_u32_e64 s[40:41], v241, v65                       // 000000019F10: D0C90028 000283F1
	v_add_u32_e32 v241, 64, v241                               // 000000019F18: 69E3E2C0
	s_nop 0                                                    // 000000019F1C: BF800000
	v_cndmask_b32_e64 v153, v64, v153, s[40:41]                // 000000019F20: D1000099 00A33340
	v_cmp_lt_u32_e64 s[40:41], v242, v65                       // 000000019F28: D0C90028 000283F2
	v_add_u32_e32 v242, 64, v242                               // 000000019F30: 69E5E4C0
	s_nop 0                                                    // 000000019F34: BF800000
	v_cndmask_b32_e64 v154, v64, v154, s[40:41]                // 000000019F38: D100009A 00A33540
	v_cmp_lt_u32_e64 s[40:41], v243, v65                       // 000000019F40: D0C90028 000283F3
	v_add_u32_e32 v243, 64, v243                               // 000000019F48: 69E7E6C0
	s_nop 0                                                    // 000000019F4C: BF800000
	v_cndmask_b32_e64 v155, v64, v155, s[40:41]                // 000000019F50: D100009B 00A33740
	v_cmp_lt_u32_e64 s[40:41], v240, v65                       // 000000019F58: D0C90028 000283F0
	v_add_u32_e32 v240, 64, v240                               // 000000019F60: 69E1E0C0
	s_nop 0                                                    // 000000019F64: BF800000
	v_cndmask_b32_e64 v156, v64, v156, s[40:41]                // 000000019F68: D100009C 00A33940
	v_cmp_lt_u32_e64 s[40:41], v241, v65                       // 000000019F70: D0C90028 000283F1
	v_add_u32_e32 v241, 64, v241                               // 000000019F78: 69E3E2C0
	s_nop 0                                                    // 000000019F7C: BF800000
	v_cndmask_b32_e64 v157, v64, v157, s[40:41]                // 000000019F80: D100009D 00A33B40
	v_cmp_lt_u32_e64 s[40:41], v242, v65                       // 000000019F88: D0C90028 000283F2
	v_add_u32_e32 v242, 64, v242                               // 000000019F90: 69E5E4C0
	s_nop 0                                                    // 000000019F94: BF800000
	v_cndmask_b32_e64 v158, v64, v158, s[40:41]                // 000000019F98: D100009E 00A33D40
	v_cmp_lt_u32_e64 s[40:41], v243, v65                       // 000000019FA0: D0C90028 000283F3
	v_add_u32_e32 v243, 64, v243                               // 000000019FA8: 69E7E6C0
	s_nop 0                                                    // 000000019FAC: BF800000
	v_cndmask_b32_e64 v159, v64, v159, s[40:41]                // 000000019FB0: D100009F 00A33F40
	v_mov_b32_e32 v48, v144                                    // 000000019FB8: 7E600390
	v_max3_f32 v48, v144, v145, v48                            // 000000019FBC: D1D30030 04C32390
	v_max3_f32 v48, v146, v147, v48                            // 000000019FC4: D1D30030 04C32792
	v_max3_f32 v48, v148, v149, v48                            // 000000019FCC: D1D30030 04C32B94
	v_max3_f32 v48, v150, v151, v48                            // 000000019FD4: D1D30030 04C32F96
	v_max3_f32 v48, v152, v153, v48                            // 000000019FDC: D1D30030 04C33398
	v_max3_f32 v48, v154, v155, v48                            // 000000019FE4: D1D30030 04C3379A
	v_max3_f32 v48, v156, v157, v48                            // 000000019FEC: D1D30030 04C33B9C
	v_max3_f32 v48, v158, v159, v48                            // 000000019FF4: D1D30030 04C33F9E
	ds_write_b32 v8, v48 offset:16896                          // 000000019FFC: D81A4200 00003008
	v_mul_f32_e32 v224, v51, v224                              // 00000001A004: 0BC1C133
	v_mul_f32_e32 v225, v51, v225                              // 00000001A008: 0BC3C333
	v_mul_f32_e32 v226, v51, v226                              // 00000001A00C: 0BC5C533
	v_mul_f32_e32 v227, v51, v227                              // 00000001A010: 0BC7C733
	v_mul_f32_e32 v228, v51, v228                              // 00000001A014: 0BC9C933
	v_mul_f32_e32 v229, v51, v229                              // 00000001A018: 0BCBCB33
	v_mul_f32_e32 v230, v51, v230                              // 00000001A01C: 0BCDCD33
	v_mul_f32_e32 v231, v51, v231                              // 00000001A020: 0BCFCF33
	s_waitcnt lgkmcnt(0)                                       // 00000001A024: BF8CC07F
	s_barrier                                                  // 00000001A028: BF8A0000
	ds_read_b32 v64, v7 offset:16896                           // 00000001A02C: D86C4200 40000007
	ds_read_b32 v65, v7 offset:16960                           // 00000001A034: D86C4240 41000007
	ds_read_b32 v66, v7 offset:17024                           // 00000001A03C: D86C4280 42000007
	ds_read_b32 v67, v7 offset:17088                           // 00000001A044: D86C42C0 43000007
	ds_read_b32 v68, v7 offset:17152                           // 00000001A04C: D86C4300 44000007
	ds_read_b32 v69, v7 offset:17216                           // 00000001A054: D86C4340 45000007
	ds_read_b32 v70, v7 offset:17280                           // 00000001A05C: D86C4380 46000007
	ds_read_b32 v71, v7 offset:17344                           // 00000001A064: D86C43C0 47000007
	ds_read_b32 v72, v7 offset:17408                           // 00000001A06C: D86C4400 48000007
	ds_read_b32 v73, v7 offset:17472                           // 00000001A074: D86C4440 49000007
	ds_read_b32 v74, v7 offset:17536                           // 00000001A07C: D86C4480 4A000007
	ds_read_b32 v75, v7 offset:17600                           // 00000001A084: D86C44C0 4B000007
	ds_read_b32 v76, v7 offset:17664                           // 00000001A08C: D86C4500 4C000007
	ds_read_b32 v77, v7 offset:17728                           // 00000001A094: D86C4540 4D000007
	ds_read_b32 v78, v7 offset:17792                           // 00000001A09C: D86C4580 4E000007
	ds_read_b32 v79, v7 offset:17856                           // 00000001A0A4: D86C45C0 4F000007
	v_mul_f32_e32 v192, v46, v192                              // 00000001A0AC: 0B81812E
	v_mul_f32_e32 v193, v46, v193                              // 00000001A0B0: 0B83832E
	v_mul_f32_e32 v194, v46, v194                              // 00000001A0B4: 0B85852E
	v_mul_f32_e32 v195, v46, v195                              // 00000001A0B8: 0B87872E
	v_mul_f32_e32 v196, v46, v196                              // 00000001A0BC: 0B89892E
	v_mul_f32_e32 v197, v46, v197                              // 00000001A0C0: 0B8B8B2E
	v_mul_f32_e32 v198, v46, v198                              // 00000001A0C4: 0B8D8D2E
	v_mul_f32_e32 v199, v46, v199                              // 00000001A0C8: 0B8F8F2E
	s_waitcnt lgkmcnt(0)                                       // 00000001A0CC: BF8CC07F
	v_max3_f32 v48, v64, v65, v48                              // 00000001A0D0: D1D30030 04C28340
	v_max3_f32 v48, v66, v67, v48                              // 00000001A0D8: D1D30030 04C28742
	v_max3_f32 v48, v68, v69, v48                              // 00000001A0E0: D1D30030 04C28B44
	v_max3_f32 v48, v70, v71, v48                              // 00000001A0E8: D1D30030 04C28F46
	v_max3_f32 v48, v72, v73, v48                              // 00000001A0F0: D1D30030 04C29348
	v_max3_f32 v48, v74, v75, v48                              // 00000001A0F8: D1D30030 04C2974A
	v_max3_f32 v48, v76, v77, v48                              // 00000001A100: D1D30030 04C29B4C
	v_max3_f32 v48, v78, v79, v48                              // 00000001A108: D1D30030 04C29F4E
	v_mov_b32_e32 v64, 0xff800000                              // 00000001A110: 7E8002FF FF800000
	v_cmp_eq_u32_e64 s[40:41], v64, v13                        // 00000001A118: D0CA0028 00021B40
	s_nop 1                                                    // 00000001A120: BF800001
	v_max_f32_e32 v15, v48, v13                                // 00000001A124: 161E1B30
	v_mul_f32_e32 v53, s64, v15                                // 00000001A128: 0A6A1E40
	v_fma_f32 v144, v144, s64, -v53                            // 00000001A12C: D1CB0090 84D48190
	v_fma_f32 v145, v145, s64, -v53                            // 00000001A134: D1CB0091 84D48191
	v_fma_f32 v146, v146, s64, -v53                            // 00000001A13C: D1CB0092 84D48192
	v_fma_f32 v147, v147, s64, -v53                            // 00000001A144: D1CB0093 84D48193
	v_fma_f32 v148, v148, s64, -v53                            // 00000001A14C: D1CB0094 84D48194
	v_fma_f32 v149, v149, s64, -v53                            // 00000001A154: D1CB0095 84D48195
	v_fma_f32 v150, v150, s64, -v53                            // 00000001A15C: D1CB0096 84D48196
	v_fma_f32 v151, v151, s64, -v53                            // 00000001A164: D1CB0097 84D48197
	v_fma_f32 v152, v152, s64, -v53                            // 00000001A16C: D1CB0098 84D48198
	v_fma_f32 v153, v153, s64, -v53                            // 00000001A174: D1CB0099 84D48199
	v_fma_f32 v154, v154, s64, -v53                            // 00000001A17C: D1CB009A 84D4819A
	v_fma_f32 v155, v155, s64, -v53                            // 00000001A184: D1CB009B 84D4819B
	v_fma_f32 v156, v156, s64, -v53                            // 00000001A18C: D1CB009C 84D4819C
	v_fma_f32 v157, v157, s64, -v53                            // 00000001A194: D1CB009D 84D4819D
	v_fma_f32 v158, v158, s64, -v53                            // 00000001A19C: D1CB009E 84D4819E
	v_fma_f32 v159, v159, s64, -v53                            // 00000001A1A4: D1CB009F 84D4819F
	v_exp_f32_e32 v144, v144                                   // 00000001A1AC: 7F204190
	v_exp_f32_e32 v145, v145                                   // 00000001A1B0: 7F224191
	v_exp_f32_e32 v146, v146                                   // 00000001A1B4: 7F244192
	v_exp_f32_e32 v147, v147                                   // 00000001A1B8: 7F264193
	v_exp_f32_e32 v148, v148                                   // 00000001A1BC: 7F284194
	v_exp_f32_e32 v149, v149                                   // 00000001A1C0: 7F2A4195
	v_exp_f32_e32 v150, v150                                   // 00000001A1C4: 7F2C4196
	v_exp_f32_e32 v151, v151                                   // 00000001A1C8: 7F2E4197
	v_exp_f32_e32 v152, v152                                   // 00000001A1CC: 7F304198
	v_exp_f32_e32 v153, v153                                   // 00000001A1D0: 7F324199
	v_exp_f32_e32 v154, v154                                   // 00000001A1D4: 7F34419A
	v_exp_f32_e32 v155, v155                                   // 00000001A1D8: 7F36419B
	v_exp_f32_e32 v156, v156                                   // 00000001A1DC: 7F38419C
	v_exp_f32_e32 v157, v157                                   // 00000001A1E0: 7F3A419D
	v_exp_f32_e32 v158, v158                                   // 00000001A1E4: 7F3C419E
	v_exp_f32_e32 v159, v159                                   // 00000001A1E8: 7F3E419F
	v_mul_f32_dpp v240, v252, v144 quad_perm:[0,0,0,0] row_mask:0xf bank_mask:0xf// 00000001A1EC: 0BE120FA FF0000FC
	v_mul_f32_dpp v241, v252, v145 quad_perm:[1,1,1,1] row_mask:0xf bank_mask:0xf// 00000001A1F4: 0BE322FA FF0055FC
	v_mul_f32_dpp v242, v252, v146 quad_perm:[2,2,2,2] row_mask:0xf bank_mask:0xf// 00000001A1FC: 0BE524FA FF00AAFC
	v_mul_f32_dpp v243, v252, v147 quad_perm:[3,3,3,3] row_mask:0xf bank_mask:0xf// 00000001A204: 0BE726FA FF00FFFC
	v_mul_f32_dpp v244, v253, v148 quad_perm:[0,0,0,0] row_mask:0xf bank_mask:0xf// 00000001A20C: 0BE928FA FF0000FD
	v_mul_f32_dpp v245, v253, v149 quad_perm:[1,1,1,1] row_mask:0xf bank_mask:0xf// 00000001A214: 0BEB2AFA FF0055FD
	v_mul_f32_dpp v246, v253, v150 quad_perm:[2,2,2,2] row_mask:0xf bank_mask:0xf// 00000001A21C: 0BED2CFA FF00AAFD
	v_mul_f32_dpp v247, v253, v151 quad_perm:[3,3,3,3] row_mask:0xf bank_mask:0xf// 00000001A224: 0BEF2EFA FF00FFFD
	v_mul_f32_dpp v248, v254, v152 quad_perm:[0,0,0,0] row_mask:0xf bank_mask:0xf// 00000001A22C: 0BF130FA FF0000FE
	v_mul_f32_dpp v249, v254, v153 quad_perm:[1,1,1,1] row_mask:0xf bank_mask:0xf// 00000001A234: 0BF332FA FF0055FE
	v_mul_f32_dpp v250, v254, v154 quad_perm:[2,2,2,2] row_mask:0xf bank_mask:0xf// 00000001A23C: 0BF534FA FF00AAFE
	v_mul_f32_dpp v251, v254, v155 quad_perm:[3,3,3,3] row_mask:0xf bank_mask:0xf// 00000001A244: 0BF736FA FF00FFFE
	v_mul_f32_dpp v252, v255, v156 quad_perm:[0,0,0,0] row_mask:0xf bank_mask:0xf// 00000001A24C: 0BF938FA FF0000FF
	v_mul_f32_dpp v253, v255, v157 quad_perm:[1,1,1,1] row_mask:0xf bank_mask:0xf// 00000001A254: 0BFB3AFA FF0055FF
	v_mul_f32_dpp v254, v255, v158 quad_perm:[2,2,2,2] row_mask:0xf bank_mask:0xf// 00000001A25C: 0BFD3CFA FF00AAFF
	v_mul_f32_dpp v255, v255, v159 quad_perm:[3,3,3,3] row_mask:0xf bank_mask:0xf// 00000001A264: 0BFF3EFA FF00FFFF
	v_mov_b32_e32 v48, 0x358637bd                              // 00000001A26C: 7E6002FF 358637BD
	v_max3_f32 v48, |v240|, |v241|, v48                        // 00000001A274: D1D30330 04C3E3F0
	v_max3_f32 v48, |v242|, |v243|, v48                        // 00000001A27C: D1D30330 04C3E7F2
	v_max3_f32 v48, |v244|, |v245|, v48                        // 00000001A284: D1D30330 04C3EBF4
	v_max3_f32 v48, |v246|, |v247|, v48                        // 00000001A28C: D1D30330 04C3EFF6
	v_max3_f32 v48, |v248|, |v249|, v48                        // 00000001A294: D1D30330 04C3F3F8
	v_max3_f32 v48, |v250|, |v251|, v48                        // 00000001A29C: D1D30330 04C3F7FA
	v_max3_f32 v48, |v252|, |v253|, v48                        // 00000001A2A4: D1D30330 04C3FBFC
	v_max3_f32 v48, |v254|, |v255|, v48                        // 00000001A2AC: D1D30330 04C3FFFE
	ds_write_b32 v8, v48 offset:20992                          // 00000001A2B4: D81A5200 00003008
	v_sub_f32_e32 v51, v13, v15                                // 00000001A2BC: 04661F0D
	v_cndmask_b32_e64 v51, v51, 0, s[40:41]                    // 00000001A2C0: D1000033 00A10133
	v_mov_b32_e32 v13, v15                                     // 00000001A2C8: 7E1A030F
	v_mul_f32_e32 v51, s64, v51                                // 00000001A2CC: 0A666640
	v_exp_f32_e32 v51, v51                                     // 00000001A2D0: 7E664133
	s_waitcnt lgkmcnt(0)                                       // 00000001A2D4: BF8CC07F
	s_barrier                                                  // 00000001A2D8: BF8A0000
	ds_read_b32 v64, v7 offset:20992                           // 00000001A2DC: D86C5200 40000007
	ds_read_b32 v65, v7 offset:21056                           // 00000001A2E4: D86C5240 41000007
	ds_read_b32 v66, v7 offset:21120                           // 00000001A2EC: D86C5280 42000007
	ds_read_b32 v67, v7 offset:21184                           // 00000001A2F4: D86C52C0 43000007
	ds_read_b32 v68, v7 offset:21248                           // 00000001A2FC: D86C5300 44000007
	ds_read_b32 v69, v7 offset:21312                           // 00000001A304: D86C5340 45000007
	ds_read_b32 v70, v7 offset:21376                           // 00000001A30C: D86C5380 46000007
	ds_read_b32 v71, v7 offset:21440                           // 00000001A314: D86C53C0 47000007
	ds_read_b32 v72, v7 offset:21504                           // 00000001A31C: D86C5400 48000007
	ds_read_b32 v73, v7 offset:21568                           // 00000001A324: D86C5440 49000007
	ds_read_b32 v74, v7 offset:21632                           // 00000001A32C: D86C5480 4A000007
	ds_read_b32 v75, v7 offset:21696                           // 00000001A334: D86C54C0 4B000007
	ds_read_b32 v76, v7 offset:21760                           // 00000001A33C: D86C5500 4C000007
	ds_read_b32 v77, v7 offset:21824                           // 00000001A344: D86C5540 4D000007
	ds_read_b32 v78, v7 offset:21888                           // 00000001A34C: D86C5580 4E000007
	ds_read_b32 v79, v7 offset:21952                           // 00000001A354: D86C55C0 4F000007
	v_mul_f32_e32 v40, v51, v40                                // 00000001A35C: 0A505133
	v_mov_b32_e32 v15, v144                                    // 00000001A360: 7E1E0390
	v_add_f32_e32 v15, v145, v15                               // 00000001A364: 021E1F91
	v_add_f32_e32 v15, v146, v15                               // 00000001A368: 021E1F92
	v_add_f32_e32 v15, v147, v15                               // 00000001A36C: 021E1F93
	v_add_f32_e32 v15, v148, v15                               // 00000001A370: 021E1F94
	v_add_f32_e32 v15, v149, v15                               // 00000001A374: 021E1F95
	v_add_f32_e32 v15, v150, v15                               // 00000001A378: 021E1F96
	v_add_f32_e32 v15, v151, v15                               // 00000001A37C: 021E1F97
	v_add_f32_e32 v15, v152, v15                               // 00000001A380: 021E1F98
	v_add_f32_e32 v15, v153, v15                               // 00000001A384: 021E1F99
	v_add_f32_e32 v15, v154, v15                               // 00000001A388: 021E1F9A
	v_add_f32_e32 v15, v155, v15                               // 00000001A38C: 021E1F9B
	v_add_f32_e32 v15, v156, v15                               // 00000001A390: 021E1F9C
	v_add_f32_e32 v15, v157, v15                               // 00000001A394: 021E1F9D
	v_add_f32_e32 v15, v158, v15                               // 00000001A398: 021E1F9E
	v_add_f32_e32 v15, v159, v15                               // 00000001A39C: 021E1F9F
	v_add_f32_e32 v40, v15, v40                                // 00000001A3A0: 0250510F
	s_waitcnt lgkmcnt(0)                                       // 00000001A3A4: BF8CC07F
	v_max3_f32 v48, |v64|, |v65|, v48                          // 00000001A3A8: D1D30330 04C28340
	v_max3_f32 v48, |v66|, |v67|, v48                          // 00000001A3B0: D1D30330 04C28742
	v_max3_f32 v48, |v68|, |v69|, v48                          // 00000001A3B8: D1D30330 04C28B44
	v_max3_f32 v48, |v70|, |v71|, v48                          // 00000001A3C0: D1D30330 04C28F46
	v_max3_f32 v48, |v72|, |v73|, v48                          // 00000001A3C8: D1D30330 04C29348
	v_max3_f32 v48, |v74|, |v75|, v48                          // 00000001A3D0: D1D30330 04C2974A
	v_max3_f32 v48, |v76|, |v77|, v48                          // 00000001A3D8: D1D30330 04C29B4C
	v_max3_f32 v48, |v78|, |v79|, v48                          // 00000001A3E0: D1D30330 04C29F4E
	s_nop 2                                                    // 00000001A3E8: BF800002
	v_rcp_f32_e32 v48, v48                                     // 00000001A3EC: 7E604530
	s_nop 1                                                    // 00000001A3F0: BF800001
	v_mul_f32_e32 v48, 0x43e00000, v48                         // 00000001A3F4: 0A6060FF 43E00000
	v_mul_f32_e32 v144, v48, v240                              // 00000001A3FC: 0B21E130
	v_mul_f32_e32 v145, v48, v241                              // 00000001A400: 0B23E330
	v_mul_f32_e32 v146, v48, v242                              // 00000001A404: 0B25E530
	v_mul_f32_e32 v147, v48, v243                              // 00000001A408: 0B27E730
	v_mul_f32_e32 v148, v48, v244                              // 00000001A40C: 0B29E930
	v_mul_f32_e32 v149, v48, v245                              // 00000001A410: 0B2BEB30
	v_mul_f32_e32 v150, v48, v246                              // 00000001A414: 0B2DED30
	v_mul_f32_e32 v151, v48, v247                              // 00000001A418: 0B2FEF30
	v_mul_f32_e32 v152, v48, v248                              // 00000001A41C: 0B31F130
	v_mul_f32_e32 v153, v48, v249                              // 00000001A420: 0B33F330
	v_mul_f32_e32 v154, v48, v250                              // 00000001A424: 0B35F530
	v_mul_f32_e32 v155, v48, v251                              // 00000001A428: 0B37F730
	v_mul_f32_e32 v156, v48, v252                              // 00000001A42C: 0B39F930
	v_mul_f32_e32 v157, v48, v253                              // 00000001A430: 0B3BFB30
	v_mul_f32_e32 v158, v48, v254                              // 00000001A434: 0B3DFD30
	v_mul_f32_e32 v159, v48, v255                              // 00000001A438: 0B3FFF30
	v_cvt_pk_fp8_f32 v144, v144, v145                          // 00000001A43C: D2A20090 00032390
	v_cvt_pk_fp8_f32 v144, v146, v147 op_sel:[0,0,1]           // 00000001A444: D2A24090 00032792
	v_cvt_pk_fp8_f32 v145, v148, v149                          // 00000001A44C: D2A20091 00032B94
	v_cvt_pk_fp8_f32 v145, v150, v151 op_sel:[0,0,1]           // 00000001A454: D2A24091 00032F96
	v_cvt_pk_fp8_f32 v146, v152, v153                          // 00000001A45C: D2A20092 00033398
	v_cvt_pk_fp8_f32 v146, v154, v155 op_sel:[0,0,1]           // 00000001A464: D2A24092 0003379A
	v_cvt_pk_fp8_f32 v147, v156, v157                          // 00000001A46C: D2A20093 00033B9C
	v_cvt_pk_fp8_f32 v147, v158, v159 op_sel:[0,0,1]           // 00000001A474: D2A24093 00033F9E
	ds_write_b32 v10, v144 offset:33280                        // 00000001A47C: D81A8200 0000900A
	ds_write_b32 v10, v145 offset:34304                        // 00000001A484: D81A8600 0000910A
	ds_write_b32 v10, v146 offset:35328                        // 00000001A48C: D81A8A00 0000920A
	ds_write_b32 v10, v147 offset:36352                        // 00000001A494: D81A8E00 0000930A
	v_add_f32_e32 v224, v224, v192                             // 00000001A49C: 03C181E0
	v_add_f32_e32 v225, v225, v193                             // 00000001A4A0: 03C383E1
	v_add_f32_e32 v226, v226, v194                             // 00000001A4A4: 03C585E2
	v_add_f32_e32 v227, v227, v195                             // 00000001A4A8: 03C787E3
	v_add_f32_e32 v228, v228, v196                             // 00000001A4AC: 03C989E4
	v_add_f32_e32 v229, v229, v197                             // 00000001A4B0: 03CB8BE5
	v_add_f32_e32 v230, v230, v198                             // 00000001A4B4: 03CD8DE6
	v_add_f32_e32 v231, v231, v199                             // 00000001A4B8: 03CF8FE7
	v_rcp_f32_e32 v46, v48                                     // 00000001A4BC: 7E5C4530
	s_waitcnt lgkmcnt(0)                                       // 00000001A4C0: BF8CC07F
	s_barrier                                                  // 00000001A4C4: BF8A0000
	ds_read_b64 v[144:145], v9 offset:33280                    // 00000001A4C8: D8EC8200 90000009
	ds_read_b64 v[146:147], v9 offset:33408                    // 00000001A4D0: D8EC8280 92000009
	ds_read_b64 v[148:149], v9 offset:34304                    // 00000001A4D8: D8EC8600 94000009
	ds_read_b64 v[150:151], v9 offset:34432                    // 00000001A4E0: D8EC8680 96000009
	ds_read_b64 v[152:153], v9 offset:35328                    // 00000001A4E8: D8EC8A00 98000009
	ds_read_b64 v[154:155], v9 offset:35456                    // 00000001A4F0: D8EC8A80 9A000009
	ds_read_b64 v[156:157], v9 offset:36352                    // 00000001A4F8: D8EC8E00 9C000009
	ds_read_b64 v[158:159], v9 offset:36480                    // 00000001A500: D8EC8E80 9E000009
	s_waitcnt vmcnt(0)                                         // 00000001A508: BF8C0F70
	s_barrier                                                  // 00000001A50C: BF8A0000
	v_mfma_f32_16x16x32_fp8_fp8 v[176:179], a[64:65], v[112:113], 0// 00000001A510: D3F300B0 0A02E140
	v_mfma_f32_16x16x32_fp8_fp8 v[176:179], a[66:67], v[114:115], v[176:179]// 00000001A518: D3F300B0 0EC2E542
	v_mfma_f32_16x16x32_fp8_fp8 v[176:179], a[68:69], v[116:117], v[176:179]// 00000001A520: D3F300B0 0EC2E944
	v_mfma_f32_16x16x32_fp8_fp8 v[176:179], a[70:71], v[118:119], v[176:179]// 00000001A528: D3F300B0 0EC2ED46
	v_mfma_f32_16x16x32_fp8_fp8 v[176:179], a[72:73], v[120:121], v[176:179]// 00000001A530: D3F300B0 0EC2F148
	v_mfma_f32_16x16x32_fp8_fp8 v[176:179], a[74:75], v[122:123], v[176:179]// 00000001A538: D3F300B0 0EC2F54A
	v_mfma_f32_16x16x32_fp8_fp8 v[176:179], a[76:77], v[124:125], v[176:179]// 00000001A540: D3F300B0 0EC2F94C
	v_mfma_f32_16x16x32_fp8_fp8 v[176:179], a[78:79], v[126:127], v[176:179]// 00000001A548: D3F300B0 0EC2FD4E
	v_mfma_f32_16x16x32_fp8_fp8 v[180:183], a[80:81], v[112:113], 0// 00000001A550: D3F300B4 0A02E150
	v_mfma_f32_16x16x32_fp8_fp8 v[180:183], a[82:83], v[114:115], v[180:183]// 00000001A558: D3F300B4 0ED2E552
	v_mfma_f32_16x16x32_fp8_fp8 v[180:183], a[84:85], v[116:117], v[180:183]// 00000001A560: D3F300B4 0ED2E954
	v_mfma_f32_16x16x32_fp8_fp8 v[180:183], a[86:87], v[118:119], v[180:183]// 00000001A568: D3F300B4 0ED2ED56
	v_mfma_f32_16x16x32_fp8_fp8 v[180:183], a[88:89], v[120:121], v[180:183]// 00000001A570: D3F300B4 0ED2F158
	v_mfma_f32_16x16x32_fp8_fp8 v[180:183], a[90:91], v[122:123], v[180:183]// 00000001A578: D3F300B4 0ED2F55A
	v_mfma_f32_16x16x32_fp8_fp8 v[180:183], a[92:93], v[124:125], v[180:183]// 00000001A580: D3F300B4 0ED2F95C
	v_mfma_f32_16x16x32_fp8_fp8 v[180:183], a[94:95], v[126:127], v[180:183]// 00000001A588: D3F300B4 0ED2FD5E
	v_mfma_f32_16x16x32_fp8_fp8 v[184:187], a[64:65], v[128:129], 0// 00000001A590: D3F300B8 0A030140
	v_mfma_f32_16x16x32_fp8_fp8 v[184:187], a[66:67], v[130:131], v[184:187]// 00000001A598: D3F300B8 0EE30542
	v_mfma_f32_16x16x32_fp8_fp8 v[184:187], a[68:69], v[132:133], v[184:187]// 00000001A5A0: D3F300B8 0EE30944
	v_mfma_f32_16x16x32_fp8_fp8 v[184:187], a[70:71], v[134:135], v[184:187]// 00000001A5A8: D3F300B8 0EE30D46
	v_mfma_f32_16x16x32_fp8_fp8 v[184:187], a[72:73], v[136:137], v[184:187]// 00000001A5B0: D3F300B8 0EE31148
	v_mfma_f32_16x16x32_fp8_fp8 v[184:187], a[74:75], v[138:139], v[184:187]// 00000001A5B8: D3F300B8 0EE3154A
	v_mfma_f32_16x16x32_fp8_fp8 v[184:187], a[76:77], v[140:141], v[184:187]// 00000001A5C0: D3F300B8 0EE3194C
	v_mfma_f32_16x16x32_fp8_fp8 v[184:187], a[78:79], v[142:143], v[184:187]// 00000001A5C8: D3F300B8 0EE31D4E
	v_mfma_f32_16x16x32_fp8_fp8 v[188:191], a[80:81], v[128:129], 0// 00000001A5D0: D3F300BC 0A030150
	v_mfma_f32_16x16x32_fp8_fp8 v[188:191], a[82:83], v[130:131], v[188:191]// 00000001A5D8: D3F300BC 0EF30552
	v_mfma_f32_16x16x32_fp8_fp8 v[188:191], a[84:85], v[132:133], v[188:191]// 00000001A5E0: D3F300BC 0EF30954
	v_mfma_f32_16x16x32_fp8_fp8 v[188:191], a[86:87], v[134:135], v[188:191]// 00000001A5E8: D3F300BC 0EF30D56
	v_mfma_f32_16x16x32_fp8_fp8 v[188:191], a[88:89], v[136:137], v[188:191]// 00000001A5F0: D3F300BC 0EF31158
	v_mfma_f32_16x16x32_fp8_fp8 v[188:191], a[90:91], v[138:139], v[188:191]// 00000001A5F8: D3F300BC 0EF3155A
	v_mfma_f32_16x16x32_fp8_fp8 v[188:191], a[92:93], v[140:141], v[188:191]// 00000001A600: D3F300BC 0EF3195C
	v_mfma_f32_16x16x32_fp8_fp8 v[188:191], a[94:95], v[142:143], v[188:191]// 00000001A608: D3F300BC 0EF31D5E
	v_mfma_f32_16x16x32_fp8_fp8 v[192:195], a[64:65], v[144:145], 0// 00000001A610: D3F300C0 0A032140
	v_mfma_f32_16x16x32_fp8_fp8 v[192:195], a[66:67], v[146:147], v[192:195]// 00000001A618: D3F300C0 0F032542
	v_mfma_f32_16x16x32_fp8_fp8 v[192:195], a[68:69], v[148:149], v[192:195]// 00000001A620: D3F300C0 0F032944
	v_mfma_f32_16x16x32_fp8_fp8 v[192:195], a[70:71], v[150:151], v[192:195]// 00000001A628: D3F300C0 0F032D46
	v_mfma_f32_16x16x32_fp8_fp8 v[192:195], a[72:73], v[152:153], v[192:195]// 00000001A630: D3F300C0 0F033148
	v_mfma_f32_16x16x32_fp8_fp8 v[192:195], a[74:75], v[154:155], v[192:195]// 00000001A638: D3F300C0 0F03354A
	v_mfma_f32_16x16x32_fp8_fp8 v[192:195], a[76:77], v[156:157], v[192:195]// 00000001A640: D3F300C0 0F03394C
	v_mfma_f32_16x16x32_fp8_fp8 v[192:195], a[78:79], v[158:159], v[192:195]// 00000001A648: D3F300C0 0F033D4E
	v_mfma_f32_16x16x32_fp8_fp8 v[196:199], a[80:81], v[144:145], 0// 00000001A650: D3F300C4 0A032150
	v_mfma_f32_16x16x32_fp8_fp8 v[196:199], a[82:83], v[146:147], v[196:199]// 00000001A658: D3F300C4 0F132552
	v_mfma_f32_16x16x32_fp8_fp8 v[196:199], a[84:85], v[148:149], v[196:199]// 00000001A660: D3F300C4 0F132954
	v_mfma_f32_16x16x32_fp8_fp8 v[196:199], a[86:87], v[150:151], v[196:199]// 00000001A668: D3F300C4 0F132D56
	v_mfma_f32_16x16x32_fp8_fp8 v[196:199], a[88:89], v[152:153], v[196:199]// 00000001A670: D3F300C4 0F133158
	v_mfma_f32_16x16x32_fp8_fp8 v[196:199], a[90:91], v[154:155], v[196:199]// 00000001A678: D3F300C4 0F13355A
	v_mfma_f32_16x16x32_fp8_fp8 v[196:199], a[92:93], v[156:157], v[196:199]// 00000001A680: D3F300C4 0F13395C
	v_mfma_f32_16x16x32_fp8_fp8 v[196:199], a[94:95], v[158:159], v[196:199]// 00000001A688: D3F300C4 0F133D5E
	s_nop 4                                                    // 00000001A690: BF800004
	s_branch label_69BE                                        // 00000001A694: BF820898

000000000001a698 <label_6126>:
	s_waitcnt vmcnt(8) lgkmcnt(0)                              // 00000001A698: BF8C0078
	s_barrier                                                  // 00000001A69C: BF8A0000
	v_mfma_f32_16x16x32_fp8_fp8 v[112:115], a[32:33], v[80:81], 0// 00000001A6A0: D3F30070 0A02A120
	v_mfma_f32_16x16x32_fp8_fp8 v[112:115], a[34:35], v[82:83], v[112:115]// 00000001A6A8: D3F30070 0DC2A522
	v_mfma_f32_16x16x32_fp8_fp8 v[112:115], a[36:37], v[84:85], v[112:115]// 00000001A6B0: D3F30070 0DC2A924
	v_mfma_f32_16x16x32_fp8_fp8 v[112:115], a[38:39], v[86:87], v[112:115]// 00000001A6B8: D3F30070 0DC2AD26
	v_mfma_f32_16x16x32_fp8_fp8 v[116:119], a[40:41], v[80:81], 0// 00000001A6C0: D3F30074 0A02A128
	v_mfma_f32_16x16x32_fp8_fp8 v[116:119], a[42:43], v[82:83], v[116:119]// 00000001A6C8: D3F30074 0DD2A52A
	v_mfma_f32_16x16x32_fp8_fp8 v[116:119], a[44:45], v[84:85], v[116:119]// 00000001A6D0: D3F30074 0DD2A92C
	v_mfma_f32_16x16x32_fp8_fp8 v[116:119], a[46:47], v[86:87], v[116:119]// 00000001A6D8: D3F30074 0DD2AD2E
	v_mfma_f32_16x16x32_fp8_fp8 v[120:123], a[48:49], v[80:81], 0// 00000001A6E0: D3F30078 0A02A130
	v_mfma_f32_16x16x32_fp8_fp8 v[120:123], a[50:51], v[82:83], v[120:123]// 00000001A6E8: D3F30078 0DE2A532
	v_mfma_f32_16x16x32_fp8_fp8 v[120:123], a[52:53], v[84:85], v[120:123]// 00000001A6F0: D3F30078 0DE2A934
	v_mfma_f32_16x16x32_fp8_fp8 v[120:123], a[54:55], v[86:87], v[120:123]// 00000001A6F8: D3F30078 0DE2AD36
	v_mfma_f32_16x16x32_fp8_fp8 v[124:127], a[56:57], v[80:81], 0// 00000001A700: D3F3007C 0A02A138
	v_mfma_f32_16x16x32_fp8_fp8 v[124:127], a[58:59], v[82:83], v[124:127]// 00000001A708: D3F3007C 0DF2A53A
	v_mfma_f32_16x16x32_fp8_fp8 v[124:127], a[60:61], v[84:85], v[124:127]// 00000001A710: D3F3007C 0DF2A93C
	v_mfma_f32_16x16x32_fp8_fp8 v[124:127], a[62:63], v[86:87], v[124:127]// 00000001A718: D3F3007C 0DF2AD3E
	v_mfma_f32_16x16x32_fp8_fp8 v[128:131], a[32:33], v[88:89], 0// 00000001A720: D3F30080 0A02B120
	v_mfma_f32_16x16x32_fp8_fp8 v[128:131], a[34:35], v[90:91], v[128:131]// 00000001A728: D3F30080 0E02B522
	v_mfma_f32_16x16x32_fp8_fp8 v[128:131], a[36:37], v[92:93], v[128:131]// 00000001A730: D3F30080 0E02B924
	v_mfma_f32_16x16x32_fp8_fp8 v[128:131], a[38:39], v[94:95], v[128:131]// 00000001A738: D3F30080 0E02BD26
	v_mfma_f32_16x16x32_fp8_fp8 v[132:135], a[40:41], v[88:89], 0// 00000001A740: D3F30084 0A02B128
	v_mfma_f32_16x16x32_fp8_fp8 v[132:135], a[42:43], v[90:91], v[132:135]// 00000001A748: D3F30084 0E12B52A
	v_mfma_f32_16x16x32_fp8_fp8 v[132:135], a[44:45], v[92:93], v[132:135]// 00000001A750: D3F30084 0E12B92C
	v_mfma_f32_16x16x32_fp8_fp8 v[132:135], a[46:47], v[94:95], v[132:135]// 00000001A758: D3F30084 0E12BD2E
	v_mfma_f32_16x16x32_fp8_fp8 v[136:139], a[48:49], v[88:89], 0// 00000001A760: D3F30088 0A02B130
	v_mfma_f32_16x16x32_fp8_fp8 v[136:139], a[50:51], v[90:91], v[136:139]// 00000001A768: D3F30088 0E22B532
	v_mfma_f32_16x16x32_fp8_fp8 v[136:139], a[52:53], v[92:93], v[136:139]// 00000001A770: D3F30088 0E22B934
	v_mfma_f32_16x16x32_fp8_fp8 v[136:139], a[54:55], v[94:95], v[136:139]// 00000001A778: D3F30088 0E22BD36
	v_mfma_f32_16x16x32_fp8_fp8 v[140:143], a[56:57], v[88:89], 0// 00000001A780: D3F3008C 0A02B138
	v_mfma_f32_16x16x32_fp8_fp8 v[140:143], a[58:59], v[90:91], v[140:143]// 00000001A788: D3F3008C 0E32B53A
	v_mfma_f32_16x16x32_fp8_fp8 v[140:143], a[60:61], v[92:93], v[140:143]// 00000001A790: D3F3008C 0E32B93C
	v_mfma_f32_16x16x32_fp8_fp8 v[140:143], a[62:63], v[94:95], v[140:143]// 00000001A798: D3F3008C 0E32BD3E
	v_mfma_f32_16x16x32_fp8_fp8 v[144:147], a[32:33], v[96:97], 0// 00000001A7A0: D3F30090 0A02C120
	v_mfma_f32_16x16x32_fp8_fp8 v[144:147], a[34:35], v[98:99], v[144:147]// 00000001A7A8: D3F30090 0E42C522
	v_mfma_f32_16x16x32_fp8_fp8 v[144:147], a[36:37], v[100:101], v[144:147]// 00000001A7B0: D3F30090 0E42C924
	v_mfma_f32_16x16x32_fp8_fp8 v[144:147], a[38:39], v[102:103], v[144:147]// 00000001A7B8: D3F30090 0E42CD26
	v_mfma_f32_16x16x32_fp8_fp8 v[148:151], a[40:41], v[96:97], 0// 00000001A7C0: D3F30094 0A02C128
	v_mfma_f32_16x16x32_fp8_fp8 v[148:151], a[42:43], v[98:99], v[148:151]// 00000001A7C8: D3F30094 0E52C52A
	v_mfma_f32_16x16x32_fp8_fp8 v[148:151], a[44:45], v[100:101], v[148:151]// 00000001A7D0: D3F30094 0E52C92C
	v_mfma_f32_16x16x32_fp8_fp8 v[148:151], a[46:47], v[102:103], v[148:151]// 00000001A7D8: D3F30094 0E52CD2E
	v_mfma_f32_16x16x32_fp8_fp8 v[152:155], a[48:49], v[96:97], 0// 00000001A7E0: D3F30098 0A02C130
	v_mfma_f32_16x16x32_fp8_fp8 v[152:155], a[50:51], v[98:99], v[152:155]// 00000001A7E8: D3F30098 0E62C532
	v_mfma_f32_16x16x32_fp8_fp8 v[152:155], a[52:53], v[100:101], v[152:155]// 00000001A7F0: D3F30098 0E62C934
	v_mfma_f32_16x16x32_fp8_fp8 v[152:155], a[54:55], v[102:103], v[152:155]// 00000001A7F8: D3F30098 0E62CD36
	v_mfma_f32_16x16x32_fp8_fp8 v[156:159], a[56:57], v[96:97], 0// 00000001A800: D3F3009C 0A02C138
	v_mfma_f32_16x16x32_fp8_fp8 v[156:159], a[58:59], v[98:99], v[156:159]// 00000001A808: D3F3009C 0E72C53A
	v_mfma_f32_16x16x32_fp8_fp8 v[156:159], a[60:61], v[100:101], v[156:159]// 00000001A810: D3F3009C 0E72C93C
	v_mfma_f32_16x16x32_fp8_fp8 v[156:159], a[62:63], v[102:103], v[156:159]// 00000001A818: D3F3009C 0E72CD3E
	v_mov_b32_dpp v64, v43 row_shr:4 row_mask:0xf bank_mask:0xf// 00000001A820: 7E8002FA FF01142B
	v_mov_b32_dpp v65, v43 row_shl:4 row_mask:0xf bank_mask:0xf// 00000001A828: 7E8202FA FF01042B
	v_cndmask_b32_e64 v248, v43, v64, s[44:45]                 // 00000001A830: D10000F8 00B2812B
	v_cndmask_b32_e64 v249, v65, v43, s[44:45]                 // 00000001A838: D10000F9 00B25741
	v_mov_b32_dpp v64, v248 row_shr:8 row_mask:0xf bank_mask:0xf// 00000001A840: 7E8002FA FF0118F8
	v_mov_b32_dpp v65, v248 row_shl:8 row_mask:0xf bank_mask:0xf// 00000001A848: 7E8202FA FF0108F8
	v_mov_b32_dpp v66, v249 row_shr:8 row_mask:0xf bank_mask:0xf// 00000001A850: 7E8402FA FF0118F9
	v_mov_b32_dpp v67, v249 row_shl:8 row_mask:0xf bank_mask:0xf// 00000001A858: 7E8602FA FF0108F9
	v_mov_b32_e32 v68, v248                                    // 00000001A860: 7E8803F8
	v_mov_b32_e32 v69, v249                                    // 00000001A864: 7E8A03F9
	v_cndmask_b32_e64 v248, v68, v64, s[42:43]                 // 00000001A868: D10000F8 00AA8144
	v_cndmask_b32_e64 v250, v68, v65, s[78:79]                 // 00000001A870: D10000FA 013A8344
	v_cndmask_b32_e64 v249, v69, v66, s[42:43]                 // 00000001A878: D10000F9 00AA8545
	v_cndmask_b32_e64 v251, v69, v67, s[78:79]                 // 00000001A880: D10000FB 013A8745
	v_mov_b32_dpp v64, v58 row_shr:4 row_mask:0xf bank_mask:0xf// 00000001A888: 7E8002FA FF01143A
	v_mov_b32_dpp v65, v58 row_shl:4 row_mask:0xf bank_mask:0xf// 00000001A890: 7E8202FA FF01043A
	v_cndmask_b32_e64 v252, v58, v64, s[44:45]                 // 00000001A898: D10000FC 00B2813A
	v_cndmask_b32_e64 v253, v65, v58, s[44:45]                 // 00000001A8A0: D10000FD 00B27541
	v_mov_b32_dpp v64, v252 row_shr:8 row_mask:0xf bank_mask:0xf// 00000001A8A8: 7E8002FA FF0118FC
	v_mov_b32_dpp v65, v252 row_shl:8 row_mask:0xf bank_mask:0xf// 00000001A8B0: 7E8202FA FF0108FC
	v_mov_b32_dpp v66, v253 row_shr:8 row_mask:0xf bank_mask:0xf// 00000001A8B8: 7E8402FA FF0118FD
	v_mov_b32_dpp v67, v253 row_shl:8 row_mask:0xf bank_mask:0xf// 00000001A8C0: 7E8602FA FF0108FD
	v_mov_b32_e32 v68, v252                                    // 00000001A8C8: 7E8803FC
	v_mov_b32_e32 v69, v253                                    // 00000001A8CC: 7E8A03FD
	v_cndmask_b32_e64 v252, v68, v64, s[42:43]                 // 00000001A8D0: D10000FC 00AA8144
	v_cndmask_b32_e64 v254, v68, v65, s[78:79]                 // 00000001A8D8: D10000FE 013A8344
	v_cndmask_b32_e64 v253, v69, v66, s[42:43]                 // 00000001A8E0: D10000FD 00AA8545
	v_cndmask_b32_e64 v255, v69, v67, s[78:79]                 // 00000001A8E8: D10000FF 013A8745
	v_mul_f32_e32 v112, v18, v112                              // 00000001A8F0: 0AE0E112
	v_mul_f32_e32 v113, v18, v113                              // 00000001A8F4: 0AE2E312
	v_mul_f32_e32 v114, v18, v114                              // 00000001A8F8: 0AE4E512
	v_mul_f32_e32 v115, v18, v115                              // 00000001A8FC: 0AE6E712
	v_mul_f32_e32 v116, v18, v116                              // 00000001A900: 0AE8E912
	v_mul_f32_e32 v117, v18, v117                              // 00000001A904: 0AEAEB12
	v_mul_f32_e32 v118, v18, v118                              // 00000001A908: 0AECED12
	v_mul_f32_e32 v119, v18, v119                              // 00000001A90C: 0AEEEF12
	v_mul_f32_e32 v120, v18, v120                              // 00000001A910: 0AF0F112
	v_mul_f32_e32 v121, v18, v121                              // 00000001A914: 0AF2F312
	v_mul_f32_e32 v122, v18, v122                              // 00000001A918: 0AF4F512
	v_mul_f32_e32 v123, v18, v123                              // 00000001A91C: 0AF6F712
	v_mul_f32_e32 v124, v18, v124                              // 00000001A920: 0AF8F912
	v_mul_f32_e32 v125, v18, v125                              // 00000001A924: 0AFAFB12
	v_mul_f32_e32 v126, v18, v126                              // 00000001A928: 0AFCFD12
	v_mul_f32_e32 v127, v18, v127                              // 00000001A92C: 0AFEFF12
	v_mul_f32_dpp v112, v248, v112 quad_perm:[0,0,0,0] row_mask:0xf bank_mask:0xf// 00000001A930: 0AE0E0FA FF0000F8
	v_mul_f32_dpp v113, v248, v113 quad_perm:[1,1,1,1] row_mask:0xf bank_mask:0xf// 00000001A938: 0AE2E2FA FF0055F8
	v_mul_f32_dpp v114, v248, v114 quad_perm:[2,2,2,2] row_mask:0xf bank_mask:0xf// 00000001A940: 0AE4E4FA FF00AAF8
	v_mul_f32_dpp v115, v248, v115 quad_perm:[3,3,3,3] row_mask:0xf bank_mask:0xf// 00000001A948: 0AE6E6FA FF00FFF8
	v_mul_f32_dpp v116, v249, v116 quad_perm:[0,0,0,0] row_mask:0xf bank_mask:0xf// 00000001A950: 0AE8E8FA FF0000F9
	v_mul_f32_dpp v117, v249, v117 quad_perm:[1,1,1,1] row_mask:0xf bank_mask:0xf// 00000001A958: 0AEAEAFA FF0055F9
	v_mul_f32_dpp v118, v249, v118 quad_perm:[2,2,2,2] row_mask:0xf bank_mask:0xf// 00000001A960: 0AECECFA FF00AAF9
	v_mul_f32_dpp v119, v249, v119 quad_perm:[3,3,3,3] row_mask:0xf bank_mask:0xf// 00000001A968: 0AEEEEFA FF00FFF9
	v_mul_f32_dpp v120, v250, v120 quad_perm:[0,0,0,0] row_mask:0xf bank_mask:0xf// 00000001A970: 0AF0F0FA FF0000FA
	v_mul_f32_dpp v121, v250, v121 quad_perm:[1,1,1,1] row_mask:0xf bank_mask:0xf// 00000001A978: 0AF2F2FA FF0055FA
	v_mul_f32_dpp v122, v250, v122 quad_perm:[2,2,2,2] row_mask:0xf bank_mask:0xf// 00000001A980: 0AF4F4FA FF00AAFA
	v_mul_f32_dpp v123, v250, v123 quad_perm:[3,3,3,3] row_mask:0xf bank_mask:0xf// 00000001A988: 0AF6F6FA FF00FFFA
	v_mul_f32_dpp v124, v251, v124 quad_perm:[0,0,0,0] row_mask:0xf bank_mask:0xf// 00000001A990: 0AF8F8FA FF0000FB
	v_mul_f32_dpp v125, v251, v125 quad_perm:[1,1,1,1] row_mask:0xf bank_mask:0xf// 00000001A998: 0AFAFAFA FF0055FB
	v_mul_f32_dpp v126, v251, v126 quad_perm:[2,2,2,2] row_mask:0xf bank_mask:0xf// 00000001A9A0: 0AFCFCFA FF00AAFB
	v_mul_f32_dpp v127, v251, v127 quad_perm:[3,3,3,3] row_mask:0xf bank_mask:0xf// 00000001A9A8: 0AFEFEFA FF00FFFB
	s_cmp_le_i32 s90, s89                                      // 00000001A9B0: BF05595A
	s_cbranch_scc1 label_625F                                  // 00000001A9B4: BF850071
	v_mov_b32_e32 v66, 0xff800000                              // 00000001A9B8: 7E8402FF FF800000
	s_mov_b32 s60, s90                                         // 00000001A9C0: BEBC005A
	s_add_u32 s61, s89, 0xff                                   // 00000001A9C4: 803DFF59 000000FF
	v_mov_b32_e32 v64, s61                                     // 00000001A9CC: 7E80023D
	v_lshrrev_b32_e32 v240, 4, v0                              // 00000001A9D0: 21E00084
	v_mul_i32_i24_e32 v240, 4, v240                            // 00000001A9D4: 0DE1E084
	v_add_u32_e32 v240, s60, v240                              // 00000001A9D8: 69E1E03C
	s_mov_b32 s61, 0                                           // 00000001A9DC: BEBD0080
	s_mul_i32 s60, 16, s7                                      // 00000001A9E0: 923C0790
	v_sub_u32_e64 v240, v240, s61                              // 00000001A9E4: D13500F0 00007BF0
	v_add_u32_e32 v240, s60, v240                              // 00000001A9EC: 69E1E03C
	v_add_u32_e32 v241, 1, v240                                // 00000001A9F0: 69E3E081
	v_add_u32_e32 v242, 2, v240                                // 00000001A9F4: 69E5E082
	v_add_u32_e32 v243, 3, v240                                // 00000001A9F8: 69E7E083
	v_cmp_le_u32_e64 s[40:41], v240, v64                       // 00000001A9FC: D0CB0028 000281F0
	v_add_u32_e32 v240, 64, v240                               // 00000001AA04: 69E1E0C0
	s_nop 0                                                    // 00000001AA08: BF800000
	v_cndmask_b32_e64 v112, v66, v112, s[40:41]                // 00000001AA0C: D1000070 00A2E142
	v_cmp_le_u32_e64 s[40:41], v241, v64                       // 00000001AA14: D0CB0028 000281F1
	v_add_u32_e32 v241, 64, v241                               // 00000001AA1C: 69E3E2C0
	s_nop 0                                                    // 00000001AA20: BF800000
	v_cndmask_b32_e64 v113, v66, v113, s[40:41]                // 00000001AA24: D1000071 00A2E342
	v_cmp_le_u32_e64 s[40:41], v242, v64                       // 00000001AA2C: D0CB0028 000281F2
	v_add_u32_e32 v242, 64, v242                               // 00000001AA34: 69E5E4C0
	s_nop 0                                                    // 00000001AA38: BF800000
	v_cndmask_b32_e64 v114, v66, v114, s[40:41]                // 00000001AA3C: D1000072 00A2E542
	v_cmp_le_u32_e64 s[40:41], v243, v64                       // 00000001AA44: D0CB0028 000281F3
	v_add_u32_e32 v243, 64, v243                               // 00000001AA4C: 69E7E6C0
	s_nop 0                                                    // 00000001AA50: BF800000
	v_cndmask_b32_e64 v115, v66, v115, s[40:41]                // 00000001AA54: D1000073 00A2E742
	v_cmp_le_u32_e64 s[40:41], v240, v64                       // 00000001AA5C: D0CB0028 000281F0
	v_add_u32_e32 v240, 64, v240                               // 00000001AA64: 69E1E0C0
	s_nop 0                                                    // 00000001AA68: BF800000
	v_cndmask_b32_e64 v116, v66, v116, s[40:41]                // 00000001AA6C: D1000074 00A2E942
	v_cmp_le_u32_e64 s[40:41], v241, v64                       // 00000001AA74: D0CB0028 000281F1
	v_add_u32_e32 v241, 64, v241                               // 00000001AA7C: 69E3E2C0
	s_nop 0                                                    // 00000001AA80: BF800000
	v_cndmask_b32_e64 v117, v66, v117, s[40:41]                // 00000001AA84: D1000075 00A2EB42
	v_cmp_le_u32_e64 s[40:41], v242, v64                       // 00000001AA8C: D0CB0028 000281F2
	v_add_u32_e32 v242, 64, v242                               // 00000001AA94: 69E5E4C0
	s_nop 0                                                    // 00000001AA98: BF800000
	v_cndmask_b32_e64 v118, v66, v118, s[40:41]                // 00000001AA9C: D1000076 00A2ED42
	v_cmp_le_u32_e64 s[40:41], v243, v64                       // 00000001AAA4: D0CB0028 000281F3
	v_add_u32_e32 v243, 64, v243                               // 00000001AAAC: 69E7E6C0
	s_nop 0                                                    // 00000001AAB0: BF800000
	v_cndmask_b32_e64 v119, v66, v119, s[40:41]                // 00000001AAB4: D1000077 00A2EF42
	v_cmp_le_u32_e64 s[40:41], v240, v64                       // 00000001AABC: D0CB0028 000281F0
	v_add_u32_e32 v240, 64, v240                               // 00000001AAC4: 69E1E0C0
	s_nop 0                                                    // 00000001AAC8: BF800000
	v_cndmask_b32_e64 v120, v66, v120, s[40:41]                // 00000001AACC: D1000078 00A2F142
	v_cmp_le_u32_e64 s[40:41], v241, v64                       // 00000001AAD4: D0CB0028 000281F1
	v_add_u32_e32 v241, 64, v241                               // 00000001AADC: 69E3E2C0
	s_nop 0                                                    // 00000001AAE0: BF800000
	v_cndmask_b32_e64 v121, v66, v121, s[40:41]                // 00000001AAE4: D1000079 00A2F342
	v_cmp_le_u32_e64 s[40:41], v242, v64                       // 00000001AAEC: D0CB0028 000281F2
	v_add_u32_e32 v242, 64, v242                               // 00000001AAF4: 69E5E4C0
	s_nop 0                                                    // 00000001AAF8: BF800000
	v_cndmask_b32_e64 v122, v66, v122, s[40:41]                // 00000001AAFC: D100007A 00A2F542
	v_cmp_le_u32_e64 s[40:41], v243, v64                       // 00000001AB04: D0CB0028 000281F3
	v_add_u32_e32 v243, 64, v243                               // 00000001AB0C: 69E7E6C0
	s_nop 0                                                    // 00000001AB10: BF800000
	v_cndmask_b32_e64 v123, v66, v123, s[40:41]                // 00000001AB14: D100007B 00A2F742
	v_cmp_le_u32_e64 s[40:41], v240, v64                       // 00000001AB1C: D0CB0028 000281F0
	v_add_u32_e32 v240, 64, v240                               // 00000001AB24: 69E1E0C0
	s_nop 0                                                    // 00000001AB28: BF800000
	v_cndmask_b32_e64 v124, v66, v124, s[40:41]                // 00000001AB2C: D100007C 00A2F942
	v_cmp_le_u32_e64 s[40:41], v241, v64                       // 00000001AB34: D0CB0028 000281F1
	v_add_u32_e32 v241, 64, v241                               // 00000001AB3C: 69E3E2C0
	s_nop 0                                                    // 00000001AB40: BF800000
	v_cndmask_b32_e64 v125, v66, v125, s[40:41]                // 00000001AB44: D100007D 00A2FB42
	v_cmp_le_u32_e64 s[40:41], v242, v64                       // 00000001AB4C: D0CB0028 000281F2
	v_add_u32_e32 v242, 64, v242                               // 00000001AB54: 69E5E4C0
	s_nop 0                                                    // 00000001AB58: BF800000
	v_cndmask_b32_e64 v126, v66, v126, s[40:41]                // 00000001AB5C: D100007E 00A2FD42
	v_cmp_le_u32_e64 s[40:41], v243, v64                       // 00000001AB64: D0CB0028 000281F3
	v_add_u32_e32 v243, 64, v243                               // 00000001AB6C: 69E7E6C0
	s_nop 0                                                    // 00000001AB70: BF800000
	v_cndmask_b32_e64 v127, v66, v127, s[40:41]                // 00000001AB74: D100007F 00A2FF42

000000000001ab7c <label_625F>:
	s_and_b32 s60, s72, 0xff                                   // 00000001AB7C: 863CFF48 000000FF
	v_mov_b32_e32 v65, s60                                     // 00000001AB84: 7E82023C
	v_lshrrev_b32_e32 v240, 4, v0                              // 00000001AB88: 21E00084
	v_mul_i32_i24_e32 v240, 4, v240                            // 00000001AB8C: 0DE1E084
	s_mul_i32 s60, s7, 16                                      // 00000001AB90: 923C9007
	v_add_u32_e32 v240, s60, v240                              // 00000001AB94: 69E1E03C
	v_add_u32_e32 v241, 1, v240                                // 00000001AB98: 69E3E081
	v_add_u32_e32 v242, 2, v240                                // 00000001AB9C: 69E5E082
	v_add_u32_e32 v243, 3, v240                                // 00000001ABA0: 69E7E083
	v_mov_b32_e32 v64, 0xff800000                              // 00000001ABA4: 7E8002FF FF800000
	v_cmp_lt_u32_e64 s[40:41], v240, v65                       // 00000001ABAC: D0C90028 000283F0
	v_add_u32_e32 v240, 64, v240                               // 00000001ABB4: 69E1E0C0
	s_nop 0                                                    // 00000001ABB8: BF800000
	v_cndmask_b32_e64 v112, v64, v112, s[40:41]                // 00000001ABBC: D1000070 00A2E140
	v_cmp_lt_u32_e64 s[40:41], v241, v65                       // 00000001ABC4: D0C90028 000283F1
	v_add_u32_e32 v241, 64, v241                               // 00000001ABCC: 69E3E2C0
	s_nop 0                                                    // 00000001ABD0: BF800000
	v_cndmask_b32_e64 v113, v64, v113, s[40:41]                // 00000001ABD4: D1000071 00A2E340
	v_cmp_lt_u32_e64 s[40:41], v242, v65                       // 00000001ABDC: D0C90028 000283F2
	v_add_u32_e32 v242, 64, v242                               // 00000001ABE4: 69E5E4C0
	s_nop 0                                                    // 00000001ABE8: BF800000
	v_cndmask_b32_e64 v114, v64, v114, s[40:41]                // 00000001ABEC: D1000072 00A2E540
	v_cmp_lt_u32_e64 s[40:41], v243, v65                       // 00000001ABF4: D0C90028 000283F3
	v_add_u32_e32 v243, 64, v243                               // 00000001ABFC: 69E7E6C0
	s_nop 0                                                    // 00000001AC00: BF800000
	v_cndmask_b32_e64 v115, v64, v115, s[40:41]                // 00000001AC04: D1000073 00A2E740
	v_cmp_lt_u32_e64 s[40:41], v240, v65                       // 00000001AC0C: D0C90028 000283F0
	v_add_u32_e32 v240, 64, v240                               // 00000001AC14: 69E1E0C0
	s_nop 0                                                    // 00000001AC18: BF800000
	v_cndmask_b32_e64 v116, v64, v116, s[40:41]                // 00000001AC1C: D1000074 00A2E940
	v_cmp_lt_u32_e64 s[40:41], v241, v65                       // 00000001AC24: D0C90028 000283F1
	v_add_u32_e32 v241, 64, v241                               // 00000001AC2C: 69E3E2C0
	s_nop 0                                                    // 00000001AC30: BF800000
	v_cndmask_b32_e64 v117, v64, v117, s[40:41]                // 00000001AC34: D1000075 00A2EB40
	v_cmp_lt_u32_e64 s[40:41], v242, v65                       // 00000001AC3C: D0C90028 000283F2
	v_add_u32_e32 v242, 64, v242                               // 00000001AC44: 69E5E4C0
	s_nop 0                                                    // 00000001AC48: BF800000
	v_cndmask_b32_e64 v118, v64, v118, s[40:41]                // 00000001AC4C: D1000076 00A2ED40
	v_cmp_lt_u32_e64 s[40:41], v243, v65                       // 00000001AC54: D0C90028 000283F3
	v_add_u32_e32 v243, 64, v243                               // 00000001AC5C: 69E7E6C0
	s_nop 0                                                    // 00000001AC60: BF800000
	v_cndmask_b32_e64 v119, v64, v119, s[40:41]                // 00000001AC64: D1000077 00A2EF40
	v_cmp_lt_u32_e64 s[40:41], v240, v65                       // 00000001AC6C: D0C90028 000283F0
	v_add_u32_e32 v240, 64, v240                               // 00000001AC74: 69E1E0C0
	s_nop 0                                                    // 00000001AC78: BF800000
	v_cndmask_b32_e64 v120, v64, v120, s[40:41]                // 00000001AC7C: D1000078 00A2F140
	v_cmp_lt_u32_e64 s[40:41], v241, v65                       // 00000001AC84: D0C90028 000283F1
	v_add_u32_e32 v241, 64, v241                               // 00000001AC8C: 69E3E2C0
	s_nop 0                                                    // 00000001AC90: BF800000
	v_cndmask_b32_e64 v121, v64, v121, s[40:41]                // 00000001AC94: D1000079 00A2F340
	v_cmp_lt_u32_e64 s[40:41], v242, v65                       // 00000001AC9C: D0C90028 000283F2
	v_add_u32_e32 v242, 64, v242                               // 00000001ACA4: 69E5E4C0
	s_nop 0                                                    // 00000001ACA8: BF800000
	v_cndmask_b32_e64 v122, v64, v122, s[40:41]                // 00000001ACAC: D100007A 00A2F540
	v_cmp_lt_u32_e64 s[40:41], v243, v65                       // 00000001ACB4: D0C90028 000283F3
	v_add_u32_e32 v243, 64, v243                               // 00000001ACBC: 69E7E6C0
	s_nop 0                                                    // 00000001ACC0: BF800000
	v_cndmask_b32_e64 v123, v64, v123, s[40:41]                // 00000001ACC4: D100007B 00A2F740
	v_cmp_lt_u32_e64 s[40:41], v240, v65                       // 00000001ACCC: D0C90028 000283F0
	v_add_u32_e32 v240, 64, v240                               // 00000001ACD4: 69E1E0C0
	s_nop 0                                                    // 00000001ACD8: BF800000
	v_cndmask_b32_e64 v124, v64, v124, s[40:41]                // 00000001ACDC: D100007C 00A2F940
	v_cmp_lt_u32_e64 s[40:41], v241, v65                       // 00000001ACE4: D0C90028 000283F1
	v_add_u32_e32 v241, 64, v241                               // 00000001ACEC: 69E3E2C0
	s_nop 0                                                    // 00000001ACF0: BF800000
	v_cndmask_b32_e64 v125, v64, v125, s[40:41]                // 00000001ACF4: D100007D 00A2FB40
	v_cmp_lt_u32_e64 s[40:41], v242, v65                       // 00000001ACFC: D0C90028 000283F2
	v_add_u32_e32 v242, 64, v242                               // 00000001AD04: 69E5E4C0
	s_nop 0                                                    // 00000001AD08: BF800000
	v_cndmask_b32_e64 v126, v64, v126, s[40:41]                // 00000001AD0C: D100007E 00A2FD40
	v_cmp_lt_u32_e64 s[40:41], v243, v65                       // 00000001AD14: D0C90028 000283F3
	v_add_u32_e32 v243, 64, v243                               // 00000001AD1C: 69E7E6C0
	s_nop 0                                                    // 00000001AD20: BF800000
	v_cndmask_b32_e64 v127, v64, v127, s[40:41]                // 00000001AD24: D100007F 00A2FF40
	v_mov_b32_e32 v48, v112                                    // 00000001AD2C: 7E600370
	v_max3_f32 v48, v112, v113, v48                            // 00000001AD30: D1D30030 04C2E370
	v_max3_f32 v48, v114, v115, v48                            // 00000001AD38: D1D30030 04C2E772
	v_max3_f32 v48, v116, v117, v48                            // 00000001AD40: D1D30030 04C2EB74
	v_max3_f32 v48, v118, v119, v48                            // 00000001AD48: D1D30030 04C2EF76
	v_max3_f32 v48, v120, v121, v48                            // 00000001AD50: D1D30030 04C2F378
	v_max3_f32 v48, v122, v123, v48                            // 00000001AD58: D1D30030 04C2F77A
	v_max3_f32 v48, v124, v125, v48                            // 00000001AD60: D1D30030 04C2FB7C
	v_max3_f32 v48, v126, v127, v48                            // 00000001AD68: D1D30030 04C2FF7E
	ds_write_b32 v8, v48 offset:16896                          // 00000001AD70: D81A4200 00003008
	v_mul_u32_u24_dpp v64, v16, v54 row_newbcast:1 row_mask:0xf bank_mask:0xf// 00000001AD78: 10806CFA FF015110
	v_mul_u32_u24_dpp v65, v16, v54 row_newbcast:5 row_mask:0xf bank_mask:0xf// 00000001AD80: 10826CFA FF015510
	v_mul_u32_u24_dpp v66, v16, v54 row_newbcast:9 row_mask:0xf bank_mask:0xf// 00000001AD88: 10846CFA FF015910
	v_mul_u32_u24_dpp v67, v16, v54 row_newbcast:13 row_mask:0xf bank_mask:0xf// 00000001AD90: 10866CFA FF015D10
	v_add_u32_e32 v30, v64, v6                                 // 00000001AD98: 683C0D40
	v_add_u32_e32 v31, v65, v6                                 // 00000001AD9C: 683E0D41
	v_add_u32_e32 v32, v66, v6                                 // 00000001ADA0: 68400D42
	v_add_u32_e32 v33, v67, v6                                 // 00000001ADA4: 68420D43
	v_mul_f32_e32 v208, v49, v208                              // 00000001ADA8: 0BA1A131
	v_mul_f32_e32 v209, v49, v209                              // 00000001ADAC: 0BA3A331
	v_mul_f32_e32 v210, v49, v210                              // 00000001ADB0: 0BA5A531
	v_mul_f32_e32 v211, v49, v211                              // 00000001ADB4: 0BA7A731
	v_mul_f32_e32 v212, v49, v212                              // 00000001ADB8: 0BA9A931
	v_mul_f32_e32 v213, v49, v213                              // 00000001ADBC: 0BABAB31
	v_mul_f32_e32 v214, v49, v214                              // 00000001ADC0: 0BADAD31
	v_mul_f32_e32 v215, v49, v215                              // 00000001ADC4: 0BAFAF31
	s_waitcnt lgkmcnt(0)                                       // 00000001ADC8: BF8CC07F
	s_barrier                                                  // 00000001ADCC: BF8A0000
	ds_read_b32 v64, v7 offset:16896                           // 00000001ADD0: D86C4200 40000007
	ds_read_b32 v65, v7 offset:16960                           // 00000001ADD8: D86C4240 41000007
	ds_read_b32 v66, v7 offset:17024                           // 00000001ADE0: D86C4280 42000007
	ds_read_b32 v67, v7 offset:17088                           // 00000001ADE8: D86C42C0 43000007
	ds_read_b32 v68, v7 offset:17152                           // 00000001ADF0: D86C4300 44000007
	ds_read_b32 v69, v7 offset:17216                           // 00000001ADF8: D86C4340 45000007
	ds_read_b32 v70, v7 offset:17280                           // 00000001AE00: D86C4380 46000007
	ds_read_b32 v71, v7 offset:17344                           // 00000001AE08: D86C43C0 47000007
	ds_read_b32 v72, v7 offset:17408                           // 00000001AE10: D86C4400 48000007
	ds_read_b32 v73, v7 offset:17472                           // 00000001AE18: D86C4440 49000007
	ds_read_b32 v74, v7 offset:17536                           // 00000001AE20: D86C4480 4A000007
	ds_read_b32 v75, v7 offset:17600                           // 00000001AE28: D86C44C0 4B000007
	ds_read_b32 v76, v7 offset:17664                           // 00000001AE30: D86C4500 4C000007
	ds_read_b32 v77, v7 offset:17728                           // 00000001AE38: D86C4540 4D000007
	ds_read_b32 v78, v7 offset:17792                           // 00000001AE40: D86C4580 4E000007
	ds_read_b32 v79, v7 offset:17856                           // 00000001AE48: D86C45C0 4F000007
	v_mul_f32_e32 v176, v44, v176                              // 00000001AE50: 0B61612C
	v_mul_f32_e32 v177, v44, v177                              // 00000001AE54: 0B63632C
	v_mul_f32_e32 v178, v44, v178                              // 00000001AE58: 0B65652C
	v_mul_f32_e32 v179, v44, v179                              // 00000001AE5C: 0B67672C
	v_mul_f32_e32 v180, v44, v180                              // 00000001AE60: 0B69692C
	v_mul_f32_e32 v181, v44, v181                              // 00000001AE64: 0B6B6B2C
	v_mul_f32_e32 v182, v44, v182                              // 00000001AE68: 0B6D6D2C
	v_mul_f32_e32 v183, v44, v183                              // 00000001AE6C: 0B6F6F2C
	s_waitcnt lgkmcnt(0)                                       // 00000001AE70: BF8CC07F
	v_max3_f32 v48, v64, v65, v48                              // 00000001AE74: D1D30030 04C28340
	v_max3_f32 v48, v66, v67, v48                              // 00000001AE7C: D1D30030 04C28742
	v_max3_f32 v48, v68, v69, v48                              // 00000001AE84: D1D30030 04C28B44
	v_max3_f32 v48, v70, v71, v48                              // 00000001AE8C: D1D30030 04C28F46
	v_max3_f32 v48, v72, v73, v48                              // 00000001AE94: D1D30030 04C29348
	v_max3_f32 v48, v74, v75, v48                              // 00000001AE9C: D1D30030 04C2974A
	v_max3_f32 v48, v76, v77, v48                              // 00000001AEA4: D1D30030 04C29B4C
	v_max3_f32 v48, v78, v79, v48                              // 00000001AEAC: D1D30030 04C29F4E
	v_mov_b32_e32 v64, 0xff800000                              // 00000001AEB4: 7E8002FF FF800000
	v_cmp_eq_u32_e64 s[40:41], v64, v11                        // 00000001AEBC: D0CA0028 00021740
	s_nop 1                                                    // 00000001AEC4: BF800001
	v_max_f32_e32 v15, v48, v11                                // 00000001AEC8: 161E1730
	v_mul_f32_e32 v53, s64, v15                                // 00000001AECC: 0A6A1E40
	v_fma_f32 v112, v112, s64, -v53                            // 00000001AED0: D1CB0070 84D48170
	v_fma_f32 v113, v113, s64, -v53                            // 00000001AED8: D1CB0071 84D48171
	v_fma_f32 v114, v114, s64, -v53                            // 00000001AEE0: D1CB0072 84D48172
	v_fma_f32 v115, v115, s64, -v53                            // 00000001AEE8: D1CB0073 84D48173
	v_fma_f32 v116, v116, s64, -v53                            // 00000001AEF0: D1CB0074 84D48174
	v_fma_f32 v117, v117, s64, -v53                            // 00000001AEF8: D1CB0075 84D48175
	v_fma_f32 v118, v118, s64, -v53                            // 00000001AF00: D1CB0076 84D48176
	v_fma_f32 v119, v119, s64, -v53                            // 00000001AF08: D1CB0077 84D48177
	v_fma_f32 v120, v120, s64, -v53                            // 00000001AF10: D1CB0078 84D48178
	v_fma_f32 v121, v121, s64, -v53                            // 00000001AF18: D1CB0079 84D48179
	v_fma_f32 v122, v122, s64, -v53                            // 00000001AF20: D1CB007A 84D4817A
	v_fma_f32 v123, v123, s64, -v53                            // 00000001AF28: D1CB007B 84D4817B
	v_fma_f32 v124, v124, s64, -v53                            // 00000001AF30: D1CB007C 84D4817C
	v_fma_f32 v125, v125, s64, -v53                            // 00000001AF38: D1CB007D 84D4817D
	v_fma_f32 v126, v126, s64, -v53                            // 00000001AF40: D1CB007E 84D4817E
	v_fma_f32 v127, v127, s64, -v53                            // 00000001AF48: D1CB007F 84D4817F
	v_exp_f32_e32 v112, v112                                   // 00000001AF50: 7EE04170
	v_exp_f32_e32 v113, v113                                   // 00000001AF54: 7EE24171
	v_exp_f32_e32 v114, v114                                   // 00000001AF58: 7EE44172
	v_exp_f32_e32 v115, v115                                   // 00000001AF5C: 7EE64173
	v_exp_f32_e32 v116, v116                                   // 00000001AF60: 7EE84174
	v_exp_f32_e32 v117, v117                                   // 00000001AF64: 7EEA4175
	v_exp_f32_e32 v118, v118                                   // 00000001AF68: 7EEC4176
	v_exp_f32_e32 v119, v119                                   // 00000001AF6C: 7EEE4177
	v_exp_f32_e32 v120, v120                                   // 00000001AF70: 7EF04178
	v_exp_f32_e32 v121, v121                                   // 00000001AF74: 7EF24179
	v_exp_f32_e32 v122, v122                                   // 00000001AF78: 7EF4417A
	v_exp_f32_e32 v123, v123                                   // 00000001AF7C: 7EF6417B
	v_exp_f32_e32 v124, v124                                   // 00000001AF80: 7EF8417C
	v_exp_f32_e32 v125, v125                                   // 00000001AF84: 7EFA417D
	v_exp_f32_e32 v126, v126                                   // 00000001AF88: 7EFC417E
	v_exp_f32_e32 v127, v127                                   // 00000001AF8C: 7EFE417F
	v_mul_f32_dpp v240, v252, v112 quad_perm:[0,0,0,0] row_mask:0xf bank_mask:0xf// 00000001AF90: 0BE0E0FA FF0000FC
	v_mul_f32_dpp v241, v252, v113 quad_perm:[1,1,1,1] row_mask:0xf bank_mask:0xf// 00000001AF98: 0BE2E2FA FF0055FC
	v_mul_f32_dpp v242, v252, v114 quad_perm:[2,2,2,2] row_mask:0xf bank_mask:0xf// 00000001AFA0: 0BE4E4FA FF00AAFC
	v_mul_f32_dpp v243, v252, v115 quad_perm:[3,3,3,3] row_mask:0xf bank_mask:0xf// 00000001AFA8: 0BE6E6FA FF00FFFC
	v_mul_f32_dpp v244, v253, v116 quad_perm:[0,0,0,0] row_mask:0xf bank_mask:0xf// 00000001AFB0: 0BE8E8FA FF0000FD
	v_mul_f32_dpp v245, v253, v117 quad_perm:[1,1,1,1] row_mask:0xf bank_mask:0xf// 00000001AFB8: 0BEAEAFA FF0055FD
	v_mul_f32_dpp v246, v253, v118 quad_perm:[2,2,2,2] row_mask:0xf bank_mask:0xf// 00000001AFC0: 0BECECFA FF00AAFD
	v_mul_f32_dpp v247, v253, v119 quad_perm:[3,3,3,3] row_mask:0xf bank_mask:0xf// 00000001AFC8: 0BEEEEFA FF00FFFD
	v_mul_f32_dpp v248, v254, v120 quad_perm:[0,0,0,0] row_mask:0xf bank_mask:0xf// 00000001AFD0: 0BF0F0FA FF0000FE
	v_mul_f32_dpp v249, v254, v121 quad_perm:[1,1,1,1] row_mask:0xf bank_mask:0xf// 00000001AFD8: 0BF2F2FA FF0055FE
	v_mul_f32_dpp v250, v254, v122 quad_perm:[2,2,2,2] row_mask:0xf bank_mask:0xf// 00000001AFE0: 0BF4F4FA FF00AAFE
	v_mul_f32_dpp v251, v254, v123 quad_perm:[3,3,3,3] row_mask:0xf bank_mask:0xf// 00000001AFE8: 0BF6F6FA FF00FFFE
	v_mul_f32_dpp v252, v255, v124 quad_perm:[0,0,0,0] row_mask:0xf bank_mask:0xf// 00000001AFF0: 0BF8F8FA FF0000FF
	v_mul_f32_dpp v253, v255, v125 quad_perm:[1,1,1,1] row_mask:0xf bank_mask:0xf// 00000001AFF8: 0BFAFAFA FF0055FF
	v_mul_f32_dpp v254, v255, v126 quad_perm:[2,2,2,2] row_mask:0xf bank_mask:0xf// 00000001B000: 0BFCFCFA FF00AAFF
	v_mul_f32_dpp v255, v255, v127 quad_perm:[3,3,3,3] row_mask:0xf bank_mask:0xf// 00000001B008: 0BFEFEFA FF00FFFF
	v_mov_b32_e32 v48, 0x358637bd                              // 00000001B010: 7E6002FF 358637BD
	v_max3_f32 v48, |v240|, |v241|, v48                        // 00000001B018: D1D30330 04C3E3F0
	v_max3_f32 v48, |v242|, |v243|, v48                        // 00000001B020: D1D30330 04C3E7F2
	v_max3_f32 v48, |v244|, |v245|, v48                        // 00000001B028: D1D30330 04C3EBF4
	v_max3_f32 v48, |v246|, |v247|, v48                        // 00000001B030: D1D30330 04C3EFF6
	v_max3_f32 v48, |v248|, |v249|, v48                        // 00000001B038: D1D30330 04C3F3F8
	v_max3_f32 v48, |v250|, |v251|, v48                        // 00000001B040: D1D30330 04C3F7FA
	v_max3_f32 v48, |v252|, |v253|, v48                        // 00000001B048: D1D30330 04C3FBFC
	v_max3_f32 v48, |v254|, |v255|, v48                        // 00000001B050: D1D30330 04C3FFFE
	ds_write_b32 v8, v48 offset:20992                          // 00000001B058: D81A5200 00003008
	v_sub_f32_e32 v49, v11, v15                                // 00000001B060: 04621F0B
	v_cndmask_b32_e64 v49, v49, 0, s[40:41]                    // 00000001B064: D1000031 00A10131
	v_mov_b32_e32 v11, v15                                     // 00000001B06C: 7E16030F
	v_mul_f32_e32 v49, s64, v49                                // 00000001B070: 0A626240
	v_exp_f32_e32 v49, v49                                     // 00000001B074: 7E624131
	s_waitcnt lgkmcnt(0)                                       // 00000001B078: BF8CC07F
	s_barrier                                                  // 00000001B07C: BF8A0000
	ds_read_b32 v64, v7 offset:20992                           // 00000001B080: D86C5200 40000007
	ds_read_b32 v65, v7 offset:21056                           // 00000001B088: D86C5240 41000007
	ds_read_b32 v66, v7 offset:21120                           // 00000001B090: D86C5280 42000007
	ds_read_b32 v67, v7 offset:21184                           // 00000001B098: D86C52C0 43000007
	ds_read_b32 v68, v7 offset:21248                           // 00000001B0A0: D86C5300 44000007
	ds_read_b32 v69, v7 offset:21312                           // 00000001B0A8: D86C5340 45000007
	ds_read_b32 v70, v7 offset:21376                           // 00000001B0B0: D86C5380 46000007
	ds_read_b32 v71, v7 offset:21440                           // 00000001B0B8: D86C53C0 47000007
	ds_read_b32 v72, v7 offset:21504                           // 00000001B0C0: D86C5400 48000007
	ds_read_b32 v73, v7 offset:21568                           // 00000001B0C8: D86C5440 49000007
	ds_read_b32 v74, v7 offset:21632                           // 00000001B0D0: D86C5480 4A000007
	ds_read_b32 v75, v7 offset:21696                           // 00000001B0D8: D86C54C0 4B000007
	ds_read_b32 v76, v7 offset:21760                           // 00000001B0E0: D86C5500 4C000007
	ds_read_b32 v77, v7 offset:21824                           // 00000001B0E8: D86C5540 4D000007
	ds_read_b32 v78, v7 offset:21888                           // 00000001B0F0: D86C5580 4E000007
	ds_read_b32 v79, v7 offset:21952                           // 00000001B0F8: D86C55C0 4F000007
	v_mul_f32_e32 v38, v49, v38                                // 00000001B100: 0A4C4D31
	v_mov_b32_e32 v15, v112                                    // 00000001B104: 7E1E0370
	v_add_f32_e32 v15, v113, v15                               // 00000001B108: 021E1F71
	v_add_f32_e32 v15, v114, v15                               // 00000001B10C: 021E1F72
	v_add_f32_e32 v15, v115, v15                               // 00000001B110: 021E1F73
	v_add_f32_e32 v15, v116, v15                               // 00000001B114: 021E1F74
	v_add_f32_e32 v15, v117, v15                               // 00000001B118: 021E1F75
	v_add_f32_e32 v15, v118, v15                               // 00000001B11C: 021E1F76
	v_add_f32_e32 v15, v119, v15                               // 00000001B120: 021E1F77
	v_add_f32_e32 v15, v120, v15                               // 00000001B124: 021E1F78
	v_add_f32_e32 v15, v121, v15                               // 00000001B128: 021E1F79
	v_add_f32_e32 v15, v122, v15                               // 00000001B12C: 021E1F7A
	v_add_f32_e32 v15, v123, v15                               // 00000001B130: 021E1F7B
	v_add_f32_e32 v15, v124, v15                               // 00000001B134: 021E1F7C
	v_add_f32_e32 v15, v125, v15                               // 00000001B138: 021E1F7D
	v_add_f32_e32 v15, v126, v15                               // 00000001B13C: 021E1F7E
	v_add_f32_e32 v15, v127, v15                               // 00000001B140: 021E1F7F
	v_add_f32_e32 v38, v15, v38                                // 00000001B144: 024C4D0F
	s_waitcnt lgkmcnt(0)                                       // 00000001B148: BF8CC07F
	v_max3_f32 v48, |v64|, |v65|, v48                          // 00000001B14C: D1D30330 04C28340
	v_max3_f32 v48, |v66|, |v67|, v48                          // 00000001B154: D1D30330 04C28742
	v_max3_f32 v48, |v68|, |v69|, v48                          // 00000001B15C: D1D30330 04C28B44
	v_max3_f32 v48, |v70|, |v71|, v48                          // 00000001B164: D1D30330 04C28F46
	v_max3_f32 v48, |v72|, |v73|, v48                          // 00000001B16C: D1D30330 04C29348
	v_max3_f32 v48, |v74|, |v75|, v48                          // 00000001B174: D1D30330 04C2974A
	v_max3_f32 v48, |v76|, |v77|, v48                          // 00000001B17C: D1D30330 04C29B4C
	v_max3_f32 v48, |v78|, |v79|, v48                          // 00000001B184: D1D30330 04C29F4E
	s_nop 2                                                    // 00000001B18C: BF800002
	v_rcp_f32_e32 v48, v48                                     // 00000001B190: 7E604530
	s_nop 1                                                    // 00000001B194: BF800001
	v_mul_f32_e32 v48, 0x43e00000, v48                         // 00000001B198: 0A6060FF 43E00000
	v_mul_f32_e32 v112, v48, v240                              // 00000001B1A0: 0AE1E130
	v_mul_f32_e32 v113, v48, v241                              // 00000001B1A4: 0AE3E330
	v_mul_f32_e32 v114, v48, v242                              // 00000001B1A8: 0AE5E530
	v_mul_f32_e32 v115, v48, v243                              // 00000001B1AC: 0AE7E730
	v_mul_f32_e32 v116, v48, v244                              // 00000001B1B0: 0AE9E930
	v_mul_f32_e32 v117, v48, v245                              // 00000001B1B4: 0AEBEB30
	v_mul_f32_e32 v118, v48, v246                              // 00000001B1B8: 0AEDED30
	v_mul_f32_e32 v119, v48, v247                              // 00000001B1BC: 0AEFEF30
	v_mul_f32_e32 v120, v48, v248                              // 00000001B1C0: 0AF1F130
	v_mul_f32_e32 v121, v48, v249                              // 00000001B1C4: 0AF3F330
	v_mul_f32_e32 v122, v48, v250                              // 00000001B1C8: 0AF5F530
	v_mul_f32_e32 v123, v48, v251                              // 00000001B1CC: 0AF7F730
	v_mul_f32_e32 v124, v48, v252                              // 00000001B1D0: 0AF9F930
	v_mul_f32_e32 v125, v48, v253                              // 00000001B1D4: 0AFBFB30
	v_mul_f32_e32 v126, v48, v254                              // 00000001B1D8: 0AFDFD30
	v_mul_f32_e32 v127, v48, v255                              // 00000001B1DC: 0AFFFF30
	v_cvt_pk_fp8_f32 v112, v112, v113                          // 00000001B1E0: D2A20070 0002E370
	v_cvt_pk_fp8_f32 v112, v114, v115 op_sel:[0,0,1]           // 00000001B1E8: D2A24070 0002E772
	v_cvt_pk_fp8_f32 v113, v116, v117                          // 00000001B1F0: D2A20071 0002EB74
	v_cvt_pk_fp8_f32 v113, v118, v119 op_sel:[0,0,1]           // 00000001B1F8: D2A24071 0002EF76
	v_cvt_pk_fp8_f32 v114, v120, v121                          // 00000001B200: D2A20072 0002F378
	v_cvt_pk_fp8_f32 v114, v122, v123 op_sel:[0,0,1]           // 00000001B208: D2A24072 0002F77A
	v_cvt_pk_fp8_f32 v115, v124, v125                          // 00000001B210: D2A20073 0002FB7C
	v_cvt_pk_fp8_f32 v115, v126, v127 op_sel:[0,0,1]           // 00000001B218: D2A24073 0002FF7E
	ds_write_b32 v10, v112 offset:25088                        // 00000001B220: D81A6200 0000700A
	ds_write_b32 v10, v113 offset:26112                        // 00000001B228: D81A6600 0000710A
	ds_write_b32 v10, v114 offset:27136                        // 00000001B230: D81A6A00 0000720A
	ds_write_b32 v10, v115 offset:28160                        // 00000001B238: D81A6E00 0000730A
	v_add_f32_e32 v208, v208, v176                             // 00000001B240: 03A161D0
	v_add_f32_e32 v209, v209, v177                             // 00000001B244: 03A363D1
	v_add_f32_e32 v210, v210, v178                             // 00000001B248: 03A565D2
	v_add_f32_e32 v211, v211, v179                             // 00000001B24C: 03A767D3
	v_add_f32_e32 v212, v212, v180                             // 00000001B250: 03A969D4
	v_add_f32_e32 v213, v213, v181                             // 00000001B254: 03AB6BD5
	v_add_f32_e32 v214, v214, v182                             // 00000001B258: 03AD6DD6
	v_add_f32_e32 v215, v215, v183                             // 00000001B25C: 03AF6FD7
	v_rcp_f32_e32 v44, v48                                     // 00000001B260: 7E584530
	s_waitcnt lgkmcnt(0)                                       // 00000001B264: BF8CC07F
	s_barrier                                                  // 00000001B268: BF8A0000
	ds_read_b64 v[112:113], v9 offset:25088                    // 00000001B26C: D8EC6200 70000009
	ds_read_b64 v[114:115], v9 offset:25216                    // 00000001B274: D8EC6280 72000009
	ds_read_b64 v[116:117], v9 offset:26112                    // 00000001B27C: D8EC6600 74000009
	ds_read_b64 v[118:119], v9 offset:26240                    // 00000001B284: D8EC6680 76000009
	ds_read_b64 v[120:121], v9 offset:27136                    // 00000001B28C: D8EC6A00 78000009
	ds_read_b64 v[122:123], v9 offset:27264                    // 00000001B294: D8EC6A80 7A000009
	ds_read_b64 v[124:125], v9 offset:28160                    // 00000001B29C: D8EC6E00 7C000009
	ds_read_b64 v[126:127], v9 offset:28288                    // 00000001B2A4: D8EC6E80 7E000009
	v_mov_b32_dpp v64, v43 row_shr:4 row_mask:0xf bank_mask:0xf// 00000001B2AC: 7E8002FA FF01142B
	v_mov_b32_dpp v65, v43 row_shl:4 row_mask:0xf bank_mask:0xf// 00000001B2B4: 7E8202FA FF01042B
	v_cndmask_b32_e64 v248, v43, v64, s[44:45]                 // 00000001B2BC: D10000F8 00B2812B
	v_cndmask_b32_e64 v249, v65, v43, s[44:45]                 // 00000001B2C4: D10000F9 00B25741
	v_mov_b32_dpp v64, v248 row_shr:8 row_mask:0xf bank_mask:0xf// 00000001B2CC: 7E8002FA FF0118F8
	v_mov_b32_dpp v65, v248 row_shl:8 row_mask:0xf bank_mask:0xf// 00000001B2D4: 7E8202FA FF0108F8
	v_mov_b32_dpp v66, v249 row_shr:8 row_mask:0xf bank_mask:0xf// 00000001B2DC: 7E8402FA FF0118F9
	v_mov_b32_dpp v67, v249 row_shl:8 row_mask:0xf bank_mask:0xf// 00000001B2E4: 7E8602FA FF0108F9
	v_mov_b32_e32 v68, v248                                    // 00000001B2EC: 7E8803F8
	v_mov_b32_e32 v69, v249                                    // 00000001B2F0: 7E8A03F9
	v_cndmask_b32_e64 v248, v68, v64, s[42:43]                 // 00000001B2F4: D10000F8 00AA8144
	v_cndmask_b32_e64 v250, v68, v65, s[78:79]                 // 00000001B2FC: D10000FA 013A8344
	v_cndmask_b32_e64 v249, v69, v66, s[42:43]                 // 00000001B304: D10000F9 00AA8545
	v_cndmask_b32_e64 v251, v69, v67, s[78:79]                 // 00000001B30C: D10000FB 013A8745
	v_mov_b32_dpp v64, v58 row_shr:4 row_mask:0xf bank_mask:0xf// 00000001B314: 7E8002FA FF01143A
	v_mov_b32_dpp v65, v58 row_shl:4 row_mask:0xf bank_mask:0xf// 00000001B31C: 7E8202FA FF01043A
	v_cndmask_b32_e64 v252, v58, v64, s[44:45]                 // 00000001B324: D10000FC 00B2813A
	v_cndmask_b32_e64 v253, v65, v58, s[44:45]                 // 00000001B32C: D10000FD 00B27541
	v_mov_b32_dpp v64, v252 row_shr:8 row_mask:0xf bank_mask:0xf// 00000001B334: 7E8002FA FF0118FC
	v_mov_b32_dpp v65, v252 row_shl:8 row_mask:0xf bank_mask:0xf// 00000001B33C: 7E8202FA FF0108FC
	v_mov_b32_dpp v66, v253 row_shr:8 row_mask:0xf bank_mask:0xf// 00000001B344: 7E8402FA FF0118FD
	v_mov_b32_dpp v67, v253 row_shl:8 row_mask:0xf bank_mask:0xf// 00000001B34C: 7E8602FA FF0108FD
	v_mov_b32_e32 v68, v252                                    // 00000001B354: 7E8803FC
	v_mov_b32_e32 v69, v253                                    // 00000001B358: 7E8A03FD
	v_cndmask_b32_e64 v252, v68, v64, s[42:43]                 // 00000001B35C: D10000FC 00AA8144
	v_cndmask_b32_e64 v254, v68, v65, s[78:79]                 // 00000001B364: D10000FE 013A8344
	v_cndmask_b32_e64 v253, v69, v66, s[42:43]                 // 00000001B36C: D10000FD 00AA8545
	v_cndmask_b32_e64 v255, v69, v67, s[78:79]                 // 00000001B374: D10000FF 013A8745
	v_mul_f32_e32 v128, v19, v128                              // 00000001B37C: 0B010113
	v_mul_f32_e32 v129, v19, v129                              // 00000001B380: 0B030313
	v_mul_f32_e32 v130, v19, v130                              // 00000001B384: 0B050513
	v_mul_f32_e32 v131, v19, v131                              // 00000001B388: 0B070713
	v_mul_f32_e32 v132, v19, v132                              // 00000001B38C: 0B090913
	v_mul_f32_e32 v133, v19, v133                              // 00000001B390: 0B0B0B13
	v_mul_f32_e32 v134, v19, v134                              // 00000001B394: 0B0D0D13
	v_mul_f32_e32 v135, v19, v135                              // 00000001B398: 0B0F0F13
	v_mul_f32_e32 v136, v19, v136                              // 00000001B39C: 0B111113
	v_mul_f32_e32 v137, v19, v137                              // 00000001B3A0: 0B131313
	v_mul_f32_e32 v138, v19, v138                              // 00000001B3A4: 0B151513
	v_mul_f32_e32 v139, v19, v139                              // 00000001B3A8: 0B171713
	v_mul_f32_e32 v140, v19, v140                              // 00000001B3AC: 0B191913
	v_mul_f32_e32 v141, v19, v141                              // 00000001B3B0: 0B1B1B13
	v_mul_f32_e32 v142, v19, v142                              // 00000001B3B4: 0B1D1D13
	v_mul_f32_e32 v143, v19, v143                              // 00000001B3B8: 0B1F1F13
	v_mul_f32_dpp v128, v248, v128 quad_perm:[0,0,0,0] row_mask:0xf bank_mask:0xf// 00000001B3BC: 0B0100FA FF0000F8
	v_mul_f32_dpp v129, v248, v129 quad_perm:[1,1,1,1] row_mask:0xf bank_mask:0xf// 00000001B3C4: 0B0302FA FF0055F8
	v_mul_f32_dpp v130, v248, v130 quad_perm:[2,2,2,2] row_mask:0xf bank_mask:0xf// 00000001B3CC: 0B0504FA FF00AAF8
	v_mul_f32_dpp v131, v248, v131 quad_perm:[3,3,3,3] row_mask:0xf bank_mask:0xf// 00000001B3D4: 0B0706FA FF00FFF8
	v_mul_f32_dpp v132, v249, v132 quad_perm:[0,0,0,0] row_mask:0xf bank_mask:0xf// 00000001B3DC: 0B0908FA FF0000F9
	v_mul_f32_dpp v133, v249, v133 quad_perm:[1,1,1,1] row_mask:0xf bank_mask:0xf// 00000001B3E4: 0B0B0AFA FF0055F9
	v_mul_f32_dpp v134, v249, v134 quad_perm:[2,2,2,2] row_mask:0xf bank_mask:0xf// 00000001B3EC: 0B0D0CFA FF00AAF9
	v_mul_f32_dpp v135, v249, v135 quad_perm:[3,3,3,3] row_mask:0xf bank_mask:0xf// 00000001B3F4: 0B0F0EFA FF00FFF9
	v_mul_f32_dpp v136, v250, v136 quad_perm:[0,0,0,0] row_mask:0xf bank_mask:0xf// 00000001B3FC: 0B1110FA FF0000FA
	v_mul_f32_dpp v137, v250, v137 quad_perm:[1,1,1,1] row_mask:0xf bank_mask:0xf// 00000001B404: 0B1312FA FF0055FA
	v_mul_f32_dpp v138, v250, v138 quad_perm:[2,2,2,2] row_mask:0xf bank_mask:0xf// 00000001B40C: 0B1514FA FF00AAFA
	v_mul_f32_dpp v139, v250, v139 quad_perm:[3,3,3,3] row_mask:0xf bank_mask:0xf// 00000001B414: 0B1716FA FF00FFFA
	v_mul_f32_dpp v140, v251, v140 quad_perm:[0,0,0,0] row_mask:0xf bank_mask:0xf// 00000001B41C: 0B1918FA FF0000FB
	v_mul_f32_dpp v141, v251, v141 quad_perm:[1,1,1,1] row_mask:0xf bank_mask:0xf// 00000001B424: 0B1B1AFA FF0055FB
	v_mul_f32_dpp v142, v251, v142 quad_perm:[2,2,2,2] row_mask:0xf bank_mask:0xf// 00000001B42C: 0B1D1CFA FF00AAFB
	v_mul_f32_dpp v143, v251, v143 quad_perm:[3,3,3,3] row_mask:0xf bank_mask:0xf// 00000001B434: 0B1F1EFA FF00FFFB
	s_cmp_le_i32 s90, s89                                      // 00000001B43C: BF05595A
	s_cbranch_scc1 label_6502                                  // 00000001B440: BF850071
	v_mov_b32_e32 v66, 0xff800000                              // 00000001B444: 7E8402FF FF800000
	s_mov_b32 s60, s90                                         // 00000001B44C: BEBC005A
	s_add_u32 s61, s89, 0xff                                   // 00000001B450: 803DFF59 000000FF
	v_mov_b32_e32 v64, s61                                     // 00000001B458: 7E80023D
	v_lshrrev_b32_e32 v240, 4, v0                              // 00000001B45C: 21E00084
	v_mul_i32_i24_e32 v240, 4, v240                            // 00000001B460: 0DE1E084
	v_add_u32_e32 v240, s60, v240                              // 00000001B464: 69E1E03C
	s_mov_b32 s61, 1                                           // 00000001B468: BEBD0081
	s_mul_i32 s60, 16, s7                                      // 00000001B46C: 923C0790
	v_sub_u32_e64 v240, v240, s61                              // 00000001B470: D13500F0 00007BF0
	v_add_u32_e32 v240, s60, v240                              // 00000001B478: 69E1E03C
	v_add_u32_e32 v241, 1, v240                                // 00000001B47C: 69E3E081
	v_add_u32_e32 v242, 2, v240                                // 00000001B480: 69E5E082
	v_add_u32_e32 v243, 3, v240                                // 00000001B484: 69E7E083
	v_cmp_le_u32_e64 s[40:41], v240, v64                       // 00000001B488: D0CB0028 000281F0
	v_add_u32_e32 v240, 64, v240                               // 00000001B490: 69E1E0C0
	s_nop 0                                                    // 00000001B494: BF800000
	v_cndmask_b32_e64 v128, v66, v128, s[40:41]                // 00000001B498: D1000080 00A30142
	v_cmp_le_u32_e64 s[40:41], v241, v64                       // 00000001B4A0: D0CB0028 000281F1
	v_add_u32_e32 v241, 64, v241                               // 00000001B4A8: 69E3E2C0
	s_nop 0                                                    // 00000001B4AC: BF800000
	v_cndmask_b32_e64 v129, v66, v129, s[40:41]                // 00000001B4B0: D1000081 00A30342
	v_cmp_le_u32_e64 s[40:41], v242, v64                       // 00000001B4B8: D0CB0028 000281F2
	v_add_u32_e32 v242, 64, v242                               // 00000001B4C0: 69E5E4C0
	s_nop 0                                                    // 00000001B4C4: BF800000
	v_cndmask_b32_e64 v130, v66, v130, s[40:41]                // 00000001B4C8: D1000082 00A30542
	v_cmp_le_u32_e64 s[40:41], v243, v64                       // 00000001B4D0: D0CB0028 000281F3
	v_add_u32_e32 v243, 64, v243                               // 00000001B4D8: 69E7E6C0
	s_nop 0                                                    // 00000001B4DC: BF800000
	v_cndmask_b32_e64 v131, v66, v131, s[40:41]                // 00000001B4E0: D1000083 00A30742
	v_cmp_le_u32_e64 s[40:41], v240, v64                       // 00000001B4E8: D0CB0028 000281F0
	v_add_u32_e32 v240, 64, v240                               // 00000001B4F0: 69E1E0C0
	s_nop 0                                                    // 00000001B4F4: BF800000
	v_cndmask_b32_e64 v132, v66, v132, s[40:41]                // 00000001B4F8: D1000084 00A30942
	v_cmp_le_u32_e64 s[40:41], v241, v64                       // 00000001B500: D0CB0028 000281F1
	v_add_u32_e32 v241, 64, v241                               // 00000001B508: 69E3E2C0
	s_nop 0                                                    // 00000001B50C: BF800000
	v_cndmask_b32_e64 v133, v66, v133, s[40:41]                // 00000001B510: D1000085 00A30B42
	v_cmp_le_u32_e64 s[40:41], v242, v64                       // 00000001B518: D0CB0028 000281F2
	v_add_u32_e32 v242, 64, v242                               // 00000001B520: 69E5E4C0
	s_nop 0                                                    // 00000001B524: BF800000
	v_cndmask_b32_e64 v134, v66, v134, s[40:41]                // 00000001B528: D1000086 00A30D42
	v_cmp_le_u32_e64 s[40:41], v243, v64                       // 00000001B530: D0CB0028 000281F3
	v_add_u32_e32 v243, 64, v243                               // 00000001B538: 69E7E6C0
	s_nop 0                                                    // 00000001B53C: BF800000
	v_cndmask_b32_e64 v135, v66, v135, s[40:41]                // 00000001B540: D1000087 00A30F42
	v_cmp_le_u32_e64 s[40:41], v240, v64                       // 00000001B548: D0CB0028 000281F0
	v_add_u32_e32 v240, 64, v240                               // 00000001B550: 69E1E0C0
	s_nop 0                                                    // 00000001B554: BF800000
	v_cndmask_b32_e64 v136, v66, v136, s[40:41]                // 00000001B558: D1000088 00A31142
	v_cmp_le_u32_e64 s[40:41], v241, v64                       // 00000001B560: D0CB0028 000281F1
	v_add_u32_e32 v241, 64, v241                               // 00000001B568: 69E3E2C0
	s_nop 0                                                    // 00000001B56C: BF800000
	v_cndmask_b32_e64 v137, v66, v137, s[40:41]                // 00000001B570: D1000089 00A31342
	v_cmp_le_u32_e64 s[40:41], v242, v64                       // 00000001B578: D0CB0028 000281F2
	v_add_u32_e32 v242, 64, v242                               // 00000001B580: 69E5E4C0
	s_nop 0                                                    // 00000001B584: BF800000
	v_cndmask_b32_e64 v138, v66, v138, s[40:41]                // 00000001B588: D100008A 00A31542
	v_cmp_le_u32_e64 s[40:41], v243, v64                       // 00000001B590: D0CB0028 000281F3
	v_add_u32_e32 v243, 64, v243                               // 00000001B598: 69E7E6C0
	s_nop 0                                                    // 00000001B59C: BF800000
	v_cndmask_b32_e64 v139, v66, v139, s[40:41]                // 00000001B5A0: D100008B 00A31742
	v_cmp_le_u32_e64 s[40:41], v240, v64                       // 00000001B5A8: D0CB0028 000281F0
	v_add_u32_e32 v240, 64, v240                               // 00000001B5B0: 69E1E0C0
	s_nop 0                                                    // 00000001B5B4: BF800000
	v_cndmask_b32_e64 v140, v66, v140, s[40:41]                // 00000001B5B8: D100008C 00A31942
	v_cmp_le_u32_e64 s[40:41], v241, v64                       // 00000001B5C0: D0CB0028 000281F1
	v_add_u32_e32 v241, 64, v241                               // 00000001B5C8: 69E3E2C0
	s_nop 0                                                    // 00000001B5CC: BF800000
	v_cndmask_b32_e64 v141, v66, v141, s[40:41]                // 00000001B5D0: D100008D 00A31B42
	v_cmp_le_u32_e64 s[40:41], v242, v64                       // 00000001B5D8: D0CB0028 000281F2
	v_add_u32_e32 v242, 64, v242                               // 00000001B5E0: 69E5E4C0
	s_nop 0                                                    // 00000001B5E4: BF800000
	v_cndmask_b32_e64 v142, v66, v142, s[40:41]                // 00000001B5E8: D100008E 00A31D42
	v_cmp_le_u32_e64 s[40:41], v243, v64                       // 00000001B5F0: D0CB0028 000281F3
	v_add_u32_e32 v243, 64, v243                               // 00000001B5F8: 69E7E6C0
	s_nop 0                                                    // 00000001B5FC: BF800000
	v_cndmask_b32_e64 v143, v66, v143, s[40:41]                // 00000001B600: D100008F 00A31F42

000000000001b608 <label_6502>:
	s_and_b32 s60, s72, 0xff                                   // 00000001B608: 863CFF48 000000FF
	v_mov_b32_e32 v65, s60                                     // 00000001B610: 7E82023C
	v_lshrrev_b32_e32 v240, 4, v0                              // 00000001B614: 21E00084
	v_mul_i32_i24_e32 v240, 4, v240                            // 00000001B618: 0DE1E084
	s_mul_i32 s60, s7, 16                                      // 00000001B61C: 923C9007
	v_add_u32_e32 v240, s60, v240                              // 00000001B620: 69E1E03C
	v_add_u32_e32 v241, 1, v240                                // 00000001B624: 69E3E081
	v_add_u32_e32 v242, 2, v240                                // 00000001B628: 69E5E082
	v_add_u32_e32 v243, 3, v240                                // 00000001B62C: 69E7E083
	v_mov_b32_e32 v64, 0xff800000                              // 00000001B630: 7E8002FF FF800000
	v_cmp_lt_u32_e64 s[40:41], v240, v65                       // 00000001B638: D0C90028 000283F0
	v_add_u32_e32 v240, 64, v240                               // 00000001B640: 69E1E0C0
	s_nop 0                                                    // 00000001B644: BF800000
	v_cndmask_b32_e64 v128, v64, v128, s[40:41]                // 00000001B648: D1000080 00A30140
	v_cmp_lt_u32_e64 s[40:41], v241, v65                       // 00000001B650: D0C90028 000283F1
	v_add_u32_e32 v241, 64, v241                               // 00000001B658: 69E3E2C0
	s_nop 0                                                    // 00000001B65C: BF800000
	v_cndmask_b32_e64 v129, v64, v129, s[40:41]                // 00000001B660: D1000081 00A30340
	v_cmp_lt_u32_e64 s[40:41], v242, v65                       // 00000001B668: D0C90028 000283F2
	v_add_u32_e32 v242, 64, v242                               // 00000001B670: 69E5E4C0
	s_nop 0                                                    // 00000001B674: BF800000
	v_cndmask_b32_e64 v130, v64, v130, s[40:41]                // 00000001B678: D1000082 00A30540
	v_cmp_lt_u32_e64 s[40:41], v243, v65                       // 00000001B680: D0C90028 000283F3
	v_add_u32_e32 v243, 64, v243                               // 00000001B688: 69E7E6C0
	s_nop 0                                                    // 00000001B68C: BF800000
	v_cndmask_b32_e64 v131, v64, v131, s[40:41]                // 00000001B690: D1000083 00A30740
	v_cmp_lt_u32_e64 s[40:41], v240, v65                       // 00000001B698: D0C90028 000283F0
	v_add_u32_e32 v240, 64, v240                               // 00000001B6A0: 69E1E0C0
	s_nop 0                                                    // 00000001B6A4: BF800000
	v_cndmask_b32_e64 v132, v64, v132, s[40:41]                // 00000001B6A8: D1000084 00A30940
	v_cmp_lt_u32_e64 s[40:41], v241, v65                       // 00000001B6B0: D0C90028 000283F1
	v_add_u32_e32 v241, 64, v241                               // 00000001B6B8: 69E3E2C0
	s_nop 0                                                    // 00000001B6BC: BF800000
	v_cndmask_b32_e64 v133, v64, v133, s[40:41]                // 00000001B6C0: D1000085 00A30B40
	v_cmp_lt_u32_e64 s[40:41], v242, v65                       // 00000001B6C8: D0C90028 000283F2
	v_add_u32_e32 v242, 64, v242                               // 00000001B6D0: 69E5E4C0
	s_nop 0                                                    // 00000001B6D4: BF800000
	v_cndmask_b32_e64 v134, v64, v134, s[40:41]                // 00000001B6D8: D1000086 00A30D40
	v_cmp_lt_u32_e64 s[40:41], v243, v65                       // 00000001B6E0: D0C90028 000283F3
	v_add_u32_e32 v243, 64, v243                               // 00000001B6E8: 69E7E6C0
	s_nop 0                                                    // 00000001B6EC: BF800000
	v_cndmask_b32_e64 v135, v64, v135, s[40:41]                // 00000001B6F0: D1000087 00A30F40
	v_cmp_lt_u32_e64 s[40:41], v240, v65                       // 00000001B6F8: D0C90028 000283F0
	v_add_u32_e32 v240, 64, v240                               // 00000001B700: 69E1E0C0
	s_nop 0                                                    // 00000001B704: BF800000
	v_cndmask_b32_e64 v136, v64, v136, s[40:41]                // 00000001B708: D1000088 00A31140
	v_cmp_lt_u32_e64 s[40:41], v241, v65                       // 00000001B710: D0C90028 000283F1
	v_add_u32_e32 v241, 64, v241                               // 00000001B718: 69E3E2C0
	s_nop 0                                                    // 00000001B71C: BF800000
	v_cndmask_b32_e64 v137, v64, v137, s[40:41]                // 00000001B720: D1000089 00A31340
	v_cmp_lt_u32_e64 s[40:41], v242, v65                       // 00000001B728: D0C90028 000283F2
	v_add_u32_e32 v242, 64, v242                               // 00000001B730: 69E5E4C0
	s_nop 0                                                    // 00000001B734: BF800000
	v_cndmask_b32_e64 v138, v64, v138, s[40:41]                // 00000001B738: D100008A 00A31540
	v_cmp_lt_u32_e64 s[40:41], v243, v65                       // 00000001B740: D0C90028 000283F3
	v_add_u32_e32 v243, 64, v243                               // 00000001B748: 69E7E6C0
	s_nop 0                                                    // 00000001B74C: BF800000
	v_cndmask_b32_e64 v139, v64, v139, s[40:41]                // 00000001B750: D100008B 00A31740
	v_cmp_lt_u32_e64 s[40:41], v240, v65                       // 00000001B758: D0C90028 000283F0
	v_add_u32_e32 v240, 64, v240                               // 00000001B760: 69E1E0C0
	s_nop 0                                                    // 00000001B764: BF800000
	v_cndmask_b32_e64 v140, v64, v140, s[40:41]                // 00000001B768: D100008C 00A31940
	v_cmp_lt_u32_e64 s[40:41], v241, v65                       // 00000001B770: D0C90028 000283F1
	v_add_u32_e32 v241, 64, v241                               // 00000001B778: 69E3E2C0
	s_nop 0                                                    // 00000001B77C: BF800000
	v_cndmask_b32_e64 v141, v64, v141, s[40:41]                // 00000001B780: D100008D 00A31B40
	v_cmp_lt_u32_e64 s[40:41], v242, v65                       // 00000001B788: D0C90028 000283F2
	v_add_u32_e32 v242, 64, v242                               // 00000001B790: 69E5E4C0
	s_nop 0                                                    // 00000001B794: BF800000
	v_cndmask_b32_e64 v142, v64, v142, s[40:41]                // 00000001B798: D100008E 00A31D40
	v_cmp_lt_u32_e64 s[40:41], v243, v65                       // 00000001B7A0: D0C90028 000283F3
	v_add_u32_e32 v243, 64, v243                               // 00000001B7A8: 69E7E6C0
	s_nop 0                                                    // 00000001B7AC: BF800000
	v_cndmask_b32_e64 v143, v64, v143, s[40:41]                // 00000001B7B0: D100008F 00A31F40
	v_mov_b32_e32 v48, v128                                    // 00000001B7B8: 7E600380
	v_max3_f32 v48, v128, v129, v48                            // 00000001B7BC: D1D30030 04C30380
	v_max3_f32 v48, v130, v131, v48                            // 00000001B7C4: D1D30030 04C30782
	v_max3_f32 v48, v132, v133, v48                            // 00000001B7CC: D1D30030 04C30B84
	v_max3_f32 v48, v134, v135, v48                            // 00000001B7D4: D1D30030 04C30F86
	v_max3_f32 v48, v136, v137, v48                            // 00000001B7DC: D1D30030 04C31388
	v_max3_f32 v48, v138, v139, v48                            // 00000001B7E4: D1D30030 04C3178A
	v_max3_f32 v48, v140, v141, v48                            // 00000001B7EC: D1D30030 04C31B8C
	v_max3_f32 v48, v142, v143, v48                            // 00000001B7F4: D1D30030 04C31F8E
	ds_write_b32 v8, v48 offset:16896                          // 00000001B7FC: D81A4200 00003008
	v_mul_f32_e32 v216, v50, v216                              // 00000001B804: 0BB1B132
	v_mul_f32_e32 v217, v50, v217                              // 00000001B808: 0BB3B332
	v_mul_f32_e32 v218, v50, v218                              // 00000001B80C: 0BB5B532
	v_mul_f32_e32 v219, v50, v219                              // 00000001B810: 0BB7B732
	v_mul_f32_e32 v220, v50, v220                              // 00000001B814: 0BB9B932
	v_mul_f32_e32 v221, v50, v221                              // 00000001B818: 0BBBBB32
	v_mul_f32_e32 v222, v50, v222                              // 00000001B81C: 0BBDBD32
	v_mul_f32_e32 v223, v50, v223                              // 00000001B820: 0BBFBF32
	s_waitcnt lgkmcnt(0)                                       // 00000001B824: BF8CC07F
	s_barrier                                                  // 00000001B828: BF8A0000
	ds_read_b32 v64, v7 offset:16896                           // 00000001B82C: D86C4200 40000007
	ds_read_b32 v65, v7 offset:16960                           // 00000001B834: D86C4240 41000007
	ds_read_b32 v66, v7 offset:17024                           // 00000001B83C: D86C4280 42000007
	ds_read_b32 v67, v7 offset:17088                           // 00000001B844: D86C42C0 43000007
	ds_read_b32 v68, v7 offset:17152                           // 00000001B84C: D86C4300 44000007
	ds_read_b32 v69, v7 offset:17216                           // 00000001B854: D86C4340 45000007
	ds_read_b32 v70, v7 offset:17280                           // 00000001B85C: D86C4380 46000007
	ds_read_b32 v71, v7 offset:17344                           // 00000001B864: D86C43C0 47000007
	ds_read_b32 v72, v7 offset:17408                           // 00000001B86C: D86C4400 48000007
	ds_read_b32 v73, v7 offset:17472                           // 00000001B874: D86C4440 49000007
	ds_read_b32 v74, v7 offset:17536                           // 00000001B87C: D86C4480 4A000007
	ds_read_b32 v75, v7 offset:17600                           // 00000001B884: D86C44C0 4B000007
	ds_read_b32 v76, v7 offset:17664                           // 00000001B88C: D86C4500 4C000007
	ds_read_b32 v77, v7 offset:17728                           // 00000001B894: D86C4540 4D000007
	ds_read_b32 v78, v7 offset:17792                           // 00000001B89C: D86C4580 4E000007
	ds_read_b32 v79, v7 offset:17856                           // 00000001B8A4: D86C45C0 4F000007
	v_mul_f32_e32 v184, v45, v184                              // 00000001B8AC: 0B71712D
	v_mul_f32_e32 v185, v45, v185                              // 00000001B8B0: 0B73732D
	v_mul_f32_e32 v186, v45, v186                              // 00000001B8B4: 0B75752D
	v_mul_f32_e32 v187, v45, v187                              // 00000001B8B8: 0B77772D
	v_mul_f32_e32 v188, v45, v188                              // 00000001B8BC: 0B79792D
	v_mul_f32_e32 v189, v45, v189                              // 00000001B8C0: 0B7B7B2D
	v_mul_f32_e32 v190, v45, v190                              // 00000001B8C4: 0B7D7D2D
	v_mul_f32_e32 v191, v45, v191                              // 00000001B8C8: 0B7F7F2D
	s_waitcnt lgkmcnt(0)                                       // 00000001B8CC: BF8CC07F
	v_max3_f32 v48, v64, v65, v48                              // 00000001B8D0: D1D30030 04C28340
	v_max3_f32 v48, v66, v67, v48                              // 00000001B8D8: D1D30030 04C28742
	v_max3_f32 v48, v68, v69, v48                              // 00000001B8E0: D1D30030 04C28B44
	v_max3_f32 v48, v70, v71, v48                              // 00000001B8E8: D1D30030 04C28F46
	v_max3_f32 v48, v72, v73, v48                              // 00000001B8F0: D1D30030 04C29348
	v_max3_f32 v48, v74, v75, v48                              // 00000001B8F8: D1D30030 04C2974A
	v_max3_f32 v48, v76, v77, v48                              // 00000001B900: D1D30030 04C29B4C
	v_max3_f32 v48, v78, v79, v48                              // 00000001B908: D1D30030 04C29F4E
	v_mov_b32_e32 v64, 0xff800000                              // 00000001B910: 7E8002FF FF800000
	v_cmp_eq_u32_e64 s[40:41], v64, v12                        // 00000001B918: D0CA0028 00021940
	s_nop 1                                                    // 00000001B920: BF800001
	v_max_f32_e32 v15, v48, v12                                // 00000001B924: 161E1930
	v_mul_f32_e32 v53, s64, v15                                // 00000001B928: 0A6A1E40
	v_fma_f32 v128, v128, s64, -v53                            // 00000001B92C: D1CB0080 84D48180
	v_fma_f32 v129, v129, s64, -v53                            // 00000001B934: D1CB0081 84D48181
	v_fma_f32 v130, v130, s64, -v53                            // 00000001B93C: D1CB0082 84D48182
	v_fma_f32 v131, v131, s64, -v53                            // 00000001B944: D1CB0083 84D48183
	v_fma_f32 v132, v132, s64, -v53                            // 00000001B94C: D1CB0084 84D48184
	v_fma_f32 v133, v133, s64, -v53                            // 00000001B954: D1CB0085 84D48185
	v_fma_f32 v134, v134, s64, -v53                            // 00000001B95C: D1CB0086 84D48186
	v_fma_f32 v135, v135, s64, -v53                            // 00000001B964: D1CB0087 84D48187
	v_fma_f32 v136, v136, s64, -v53                            // 00000001B96C: D1CB0088 84D48188
	v_fma_f32 v137, v137, s64, -v53                            // 00000001B974: D1CB0089 84D48189
	v_fma_f32 v138, v138, s64, -v53                            // 00000001B97C: D1CB008A 84D4818A
	v_fma_f32 v139, v139, s64, -v53                            // 00000001B984: D1CB008B 84D4818B
	v_fma_f32 v140, v140, s64, -v53                            // 00000001B98C: D1CB008C 84D4818C
	v_fma_f32 v141, v141, s64, -v53                            // 00000001B994: D1CB008D 84D4818D
	v_fma_f32 v142, v142, s64, -v53                            // 00000001B99C: D1CB008E 84D4818E
	v_fma_f32 v143, v143, s64, -v53                            // 00000001B9A4: D1CB008F 84D4818F
	v_exp_f32_e32 v128, v128                                   // 00000001B9AC: 7F004180
	v_exp_f32_e32 v129, v129                                   // 00000001B9B0: 7F024181
	v_exp_f32_e32 v130, v130                                   // 00000001B9B4: 7F044182
	v_exp_f32_e32 v131, v131                                   // 00000001B9B8: 7F064183
	v_exp_f32_e32 v132, v132                                   // 00000001B9BC: 7F084184
	v_exp_f32_e32 v133, v133                                   // 00000001B9C0: 7F0A4185
	v_exp_f32_e32 v134, v134                                   // 00000001B9C4: 7F0C4186
	v_exp_f32_e32 v135, v135                                   // 00000001B9C8: 7F0E4187
	v_exp_f32_e32 v136, v136                                   // 00000001B9CC: 7F104188
	v_exp_f32_e32 v137, v137                                   // 00000001B9D0: 7F124189
	v_exp_f32_e32 v138, v138                                   // 00000001B9D4: 7F14418A
	v_exp_f32_e32 v139, v139                                   // 00000001B9D8: 7F16418B
	v_exp_f32_e32 v140, v140                                   // 00000001B9DC: 7F18418C
	v_exp_f32_e32 v141, v141                                   // 00000001B9E0: 7F1A418D
	v_exp_f32_e32 v142, v142                                   // 00000001B9E4: 7F1C418E
	v_exp_f32_e32 v143, v143                                   // 00000001B9E8: 7F1E418F
	v_mul_f32_dpp v240, v252, v128 quad_perm:[0,0,0,0] row_mask:0xf bank_mask:0xf// 00000001B9EC: 0BE100FA FF0000FC
	v_mul_f32_dpp v241, v252, v129 quad_perm:[1,1,1,1] row_mask:0xf bank_mask:0xf// 00000001B9F4: 0BE302FA FF0055FC
	v_mul_f32_dpp v242, v252, v130 quad_perm:[2,2,2,2] row_mask:0xf bank_mask:0xf// 00000001B9FC: 0BE504FA FF00AAFC
	v_mul_f32_dpp v243, v252, v131 quad_perm:[3,3,3,3] row_mask:0xf bank_mask:0xf// 00000001BA04: 0BE706FA FF00FFFC
	v_mul_f32_dpp v244, v253, v132 quad_perm:[0,0,0,0] row_mask:0xf bank_mask:0xf// 00000001BA0C: 0BE908FA FF0000FD
	v_mul_f32_dpp v245, v253, v133 quad_perm:[1,1,1,1] row_mask:0xf bank_mask:0xf// 00000001BA14: 0BEB0AFA FF0055FD
	v_mul_f32_dpp v246, v253, v134 quad_perm:[2,2,2,2] row_mask:0xf bank_mask:0xf// 00000001BA1C: 0BED0CFA FF00AAFD
	v_mul_f32_dpp v247, v253, v135 quad_perm:[3,3,3,3] row_mask:0xf bank_mask:0xf// 00000001BA24: 0BEF0EFA FF00FFFD
	v_mul_f32_dpp v248, v254, v136 quad_perm:[0,0,0,0] row_mask:0xf bank_mask:0xf// 00000001BA2C: 0BF110FA FF0000FE
	v_mul_f32_dpp v249, v254, v137 quad_perm:[1,1,1,1] row_mask:0xf bank_mask:0xf// 00000001BA34: 0BF312FA FF0055FE
	v_mul_f32_dpp v250, v254, v138 quad_perm:[2,2,2,2] row_mask:0xf bank_mask:0xf// 00000001BA3C: 0BF514FA FF00AAFE
	v_mul_f32_dpp v251, v254, v139 quad_perm:[3,3,3,3] row_mask:0xf bank_mask:0xf// 00000001BA44: 0BF716FA FF00FFFE
	v_mul_f32_dpp v252, v255, v140 quad_perm:[0,0,0,0] row_mask:0xf bank_mask:0xf// 00000001BA4C: 0BF918FA FF0000FF
	v_mul_f32_dpp v253, v255, v141 quad_perm:[1,1,1,1] row_mask:0xf bank_mask:0xf// 00000001BA54: 0BFB1AFA FF0055FF
	v_mul_f32_dpp v254, v255, v142 quad_perm:[2,2,2,2] row_mask:0xf bank_mask:0xf// 00000001BA5C: 0BFD1CFA FF00AAFF
	v_mul_f32_dpp v255, v255, v143 quad_perm:[3,3,3,3] row_mask:0xf bank_mask:0xf// 00000001BA64: 0BFF1EFA FF00FFFF
	v_mov_b32_e32 v48, 0x358637bd                              // 00000001BA6C: 7E6002FF 358637BD
	v_max3_f32 v48, |v240|, |v241|, v48                        // 00000001BA74: D1D30330 04C3E3F0
	v_max3_f32 v48, |v242|, |v243|, v48                        // 00000001BA7C: D1D30330 04C3E7F2
	v_max3_f32 v48, |v244|, |v245|, v48                        // 00000001BA84: D1D30330 04C3EBF4
	v_max3_f32 v48, |v246|, |v247|, v48                        // 00000001BA8C: D1D30330 04C3EFF6
	v_max3_f32 v48, |v248|, |v249|, v48                        // 00000001BA94: D1D30330 04C3F3F8
	v_max3_f32 v48, |v250|, |v251|, v48                        // 00000001BA9C: D1D30330 04C3F7FA
	v_max3_f32 v48, |v252|, |v253|, v48                        // 00000001BAA4: D1D30330 04C3FBFC
	v_max3_f32 v48, |v254|, |v255|, v48                        // 00000001BAAC: D1D30330 04C3FFFE
	ds_write_b32 v8, v48 offset:20992                          // 00000001BAB4: D81A5200 00003008
	v_sub_f32_e32 v50, v12, v15                                // 00000001BABC: 04641F0C
	v_cndmask_b32_e64 v50, v50, 0, s[40:41]                    // 00000001BAC0: D1000032 00A10132
	v_mov_b32_e32 v12, v15                                     // 00000001BAC8: 7E18030F
	v_mul_f32_e32 v50, s64, v50                                // 00000001BACC: 0A646440
	v_exp_f32_e32 v50, v50                                     // 00000001BAD0: 7E644132
	s_waitcnt lgkmcnt(0)                                       // 00000001BAD4: BF8CC07F
	s_barrier                                                  // 00000001BAD8: BF8A0000
	ds_read_b32 v64, v7 offset:20992                           // 00000001BADC: D86C5200 40000007
	ds_read_b32 v65, v7 offset:21056                           // 00000001BAE4: D86C5240 41000007
	ds_read_b32 v66, v7 offset:21120                           // 00000001BAEC: D86C5280 42000007
	ds_read_b32 v67, v7 offset:21184                           // 00000001BAF4: D86C52C0 43000007
	ds_read_b32 v68, v7 offset:21248                           // 00000001BAFC: D86C5300 44000007
	ds_read_b32 v69, v7 offset:21312                           // 00000001BB04: D86C5340 45000007
	ds_read_b32 v70, v7 offset:21376                           // 00000001BB0C: D86C5380 46000007
	ds_read_b32 v71, v7 offset:21440                           // 00000001BB14: D86C53C0 47000007
	ds_read_b32 v72, v7 offset:21504                           // 00000001BB1C: D86C5400 48000007
	ds_read_b32 v73, v7 offset:21568                           // 00000001BB24: D86C5440 49000007
	ds_read_b32 v74, v7 offset:21632                           // 00000001BB2C: D86C5480 4A000007
	ds_read_b32 v75, v7 offset:21696                           // 00000001BB34: D86C54C0 4B000007
	ds_read_b32 v76, v7 offset:21760                           // 00000001BB3C: D86C5500 4C000007
	ds_read_b32 v77, v7 offset:21824                           // 00000001BB44: D86C5540 4D000007
	ds_read_b32 v78, v7 offset:21888                           // 00000001BB4C: D86C5580 4E000007
	ds_read_b32 v79, v7 offset:21952                           // 00000001BB54: D86C55C0 4F000007
	v_mul_f32_e32 v39, v50, v39                                // 00000001BB5C: 0A4E4F32
	v_mov_b32_e32 v15, v128                                    // 00000001BB60: 7E1E0380
	v_add_f32_e32 v15, v129, v15                               // 00000001BB64: 021E1F81
	v_add_f32_e32 v15, v130, v15                               // 00000001BB68: 021E1F82
	v_add_f32_e32 v15, v131, v15                               // 00000001BB6C: 021E1F83
	v_add_f32_e32 v15, v132, v15                               // 00000001BB70: 021E1F84
	v_add_f32_e32 v15, v133, v15                               // 00000001BB74: 021E1F85
	v_add_f32_e32 v15, v134, v15                               // 00000001BB78: 021E1F86
	v_add_f32_e32 v15, v135, v15                               // 00000001BB7C: 021E1F87
	v_add_f32_e32 v15, v136, v15                               // 00000001BB80: 021E1F88
	v_add_f32_e32 v15, v137, v15                               // 00000001BB84: 021E1F89
	v_add_f32_e32 v15, v138, v15                               // 00000001BB88: 021E1F8A
	v_add_f32_e32 v15, v139, v15                               // 00000001BB8C: 021E1F8B
	v_add_f32_e32 v15, v140, v15                               // 00000001BB90: 021E1F8C
	v_add_f32_e32 v15, v141, v15                               // 00000001BB94: 021E1F8D
	v_add_f32_e32 v15, v142, v15                               // 00000001BB98: 021E1F8E
	v_add_f32_e32 v15, v143, v15                               // 00000001BB9C: 021E1F8F
	v_add_f32_e32 v39, v15, v39                                // 00000001BBA0: 024E4F0F
	s_waitcnt lgkmcnt(0)                                       // 00000001BBA4: BF8CC07F
	v_max3_f32 v48, |v64|, |v65|, v48                          // 00000001BBA8: D1D30330 04C28340
	v_max3_f32 v48, |v66|, |v67|, v48                          // 00000001BBB0: D1D30330 04C28742
	v_max3_f32 v48, |v68|, |v69|, v48                          // 00000001BBB8: D1D30330 04C28B44
	v_max3_f32 v48, |v70|, |v71|, v48                          // 00000001BBC0: D1D30330 04C28F46
	v_max3_f32 v48, |v72|, |v73|, v48                          // 00000001BBC8: D1D30330 04C29348
	v_max3_f32 v48, |v74|, |v75|, v48                          // 00000001BBD0: D1D30330 04C2974A
	v_max3_f32 v48, |v76|, |v77|, v48                          // 00000001BBD8: D1D30330 04C29B4C
	v_max3_f32 v48, |v78|, |v79|, v48                          // 00000001BBE0: D1D30330 04C29F4E
	s_nop 2                                                    // 00000001BBE8: BF800002
	v_rcp_f32_e32 v48, v48                                     // 00000001BBEC: 7E604530
	s_nop 1                                                    // 00000001BBF0: BF800001
	v_mul_f32_e32 v48, 0x43e00000, v48                         // 00000001BBF4: 0A6060FF 43E00000
	v_mul_f32_e32 v128, v48, v240                              // 00000001BBFC: 0B01E130
	v_mul_f32_e32 v129, v48, v241                              // 00000001BC00: 0B03E330
	v_mul_f32_e32 v130, v48, v242                              // 00000001BC04: 0B05E530
	v_mul_f32_e32 v131, v48, v243                              // 00000001BC08: 0B07E730
	v_mul_f32_e32 v132, v48, v244                              // 00000001BC0C: 0B09E930
	v_mul_f32_e32 v133, v48, v245                              // 00000001BC10: 0B0BEB30
	v_mul_f32_e32 v134, v48, v246                              // 00000001BC14: 0B0DED30
	v_mul_f32_e32 v135, v48, v247                              // 00000001BC18: 0B0FEF30
	v_mul_f32_e32 v136, v48, v248                              // 00000001BC1C: 0B11F130
	v_mul_f32_e32 v137, v48, v249                              // 00000001BC20: 0B13F330
	v_mul_f32_e32 v138, v48, v250                              // 00000001BC24: 0B15F530
	v_mul_f32_e32 v139, v48, v251                              // 00000001BC28: 0B17F730
	v_mul_f32_e32 v140, v48, v252                              // 00000001BC2C: 0B19F930
	v_mul_f32_e32 v141, v48, v253                              // 00000001BC30: 0B1BFB30
	v_mul_f32_e32 v142, v48, v254                              // 00000001BC34: 0B1DFD30
	v_mul_f32_e32 v143, v48, v255                              // 00000001BC38: 0B1FFF30
	v_cvt_pk_fp8_f32 v128, v128, v129                          // 00000001BC3C: D2A20080 00030380
	v_cvt_pk_fp8_f32 v128, v130, v131 op_sel:[0,0,1]           // 00000001BC44: D2A24080 00030782
	v_cvt_pk_fp8_f32 v129, v132, v133                          // 00000001BC4C: D2A20081 00030B84
	v_cvt_pk_fp8_f32 v129, v134, v135 op_sel:[0,0,1]           // 00000001BC54: D2A24081 00030F86
	v_cvt_pk_fp8_f32 v130, v136, v137                          // 00000001BC5C: D2A20082 00031388
	v_cvt_pk_fp8_f32 v130, v138, v139 op_sel:[0,0,1]           // 00000001BC64: D2A24082 0003178A
	v_cvt_pk_fp8_f32 v131, v140, v141                          // 00000001BC6C: D2A20083 00031B8C
	v_cvt_pk_fp8_f32 v131, v142, v143 op_sel:[0,0,1]           // 00000001BC74: D2A24083 00031F8E
	ds_write_b32 v10, v128 offset:29184                        // 00000001BC7C: D81A7200 0000800A
	ds_write_b32 v10, v129 offset:30208                        // 00000001BC84: D81A7600 0000810A
	ds_write_b32 v10, v130 offset:31232                        // 00000001BC8C: D81A7A00 0000820A
	ds_write_b32 v10, v131 offset:32256                        // 00000001BC94: D81A7E00 0000830A
	v_add_f32_e32 v216, v216, v184                             // 00000001BC9C: 03B171D8
	v_add_f32_e32 v217, v217, v185                             // 00000001BCA0: 03B373D9
	v_add_f32_e32 v218, v218, v186                             // 00000001BCA4: 03B575DA
	v_add_f32_e32 v219, v219, v187                             // 00000001BCA8: 03B777DB
	v_add_f32_e32 v220, v220, v188                             // 00000001BCAC: 03B979DC
	v_add_f32_e32 v221, v221, v189                             // 00000001BCB0: 03BB7BDD
	v_add_f32_e32 v222, v222, v190                             // 00000001BCB4: 03BD7DDE
	v_add_f32_e32 v223, v223, v191                             // 00000001BCB8: 03BF7FDF
	v_rcp_f32_e32 v45, v48                                     // 00000001BCBC: 7E5A4530
	s_waitcnt lgkmcnt(0)                                       // 00000001BCC0: BF8CC07F
	s_barrier                                                  // 00000001BCC4: BF8A0000
	ds_read_b64 v[128:129], v9 offset:29184                    // 00000001BCC8: D8EC7200 80000009
	ds_read_b64 v[130:131], v9 offset:29312                    // 00000001BCD0: D8EC7280 82000009
	ds_read_b64 v[132:133], v9 offset:30208                    // 00000001BCD8: D8EC7600 84000009
	ds_read_b64 v[134:135], v9 offset:30336                    // 00000001BCE0: D8EC7680 86000009
	ds_read_b64 v[136:137], v9 offset:31232                    // 00000001BCE8: D8EC7A00 88000009
	ds_read_b64 v[138:139], v9 offset:31360                    // 00000001BCF0: D8EC7A80 8A000009
	ds_read_b64 v[140:141], v9 offset:32256                    // 00000001BCF8: D8EC7E00 8C000009
	ds_read_b64 v[142:143], v9 offset:32384                    // 00000001BD00: D8EC7E80 8E000009
	v_mov_b32_dpp v64, v43 row_shr:4 row_mask:0xf bank_mask:0xf// 00000001BD08: 7E8002FA FF01142B
	v_mov_b32_dpp v65, v43 row_shl:4 row_mask:0xf bank_mask:0xf// 00000001BD10: 7E8202FA FF01042B
	v_cndmask_b32_e64 v248, v43, v64, s[44:45]                 // 00000001BD18: D10000F8 00B2812B
	v_cndmask_b32_e64 v249, v65, v43, s[44:45]                 // 00000001BD20: D10000F9 00B25741
	v_mov_b32_dpp v64, v248 row_shr:8 row_mask:0xf bank_mask:0xf// 00000001BD28: 7E8002FA FF0118F8
	v_mov_b32_dpp v65, v248 row_shl:8 row_mask:0xf bank_mask:0xf// 00000001BD30: 7E8202FA FF0108F8
	v_mov_b32_dpp v66, v249 row_shr:8 row_mask:0xf bank_mask:0xf// 00000001BD38: 7E8402FA FF0118F9
	v_mov_b32_dpp v67, v249 row_shl:8 row_mask:0xf bank_mask:0xf// 00000001BD40: 7E8602FA FF0108F9
	v_mov_b32_e32 v68, v248                                    // 00000001BD48: 7E8803F8
	v_mov_b32_e32 v69, v249                                    // 00000001BD4C: 7E8A03F9
	v_cndmask_b32_e64 v248, v68, v64, s[42:43]                 // 00000001BD50: D10000F8 00AA8144
	v_cndmask_b32_e64 v250, v68, v65, s[78:79]                 // 00000001BD58: D10000FA 013A8344
	v_cndmask_b32_e64 v249, v69, v66, s[42:43]                 // 00000001BD60: D10000F9 00AA8545
	v_cndmask_b32_e64 v251, v69, v67, s[78:79]                 // 00000001BD68: D10000FB 013A8745
	v_mov_b32_dpp v64, v58 row_shr:4 row_mask:0xf bank_mask:0xf// 00000001BD70: 7E8002FA FF01143A
	v_mov_b32_dpp v65, v58 row_shl:4 row_mask:0xf bank_mask:0xf// 00000001BD78: 7E8202FA FF01043A
	v_cndmask_b32_e64 v252, v58, v64, s[44:45]                 // 00000001BD80: D10000FC 00B2813A
	v_cndmask_b32_e64 v253, v65, v58, s[44:45]                 // 00000001BD88: D10000FD 00B27541
	v_mov_b32_dpp v64, v252 row_shr:8 row_mask:0xf bank_mask:0xf// 00000001BD90: 7E8002FA FF0118FC
	v_mov_b32_dpp v65, v252 row_shl:8 row_mask:0xf bank_mask:0xf// 00000001BD98: 7E8202FA FF0108FC
	v_mov_b32_dpp v66, v253 row_shr:8 row_mask:0xf bank_mask:0xf// 00000001BDA0: 7E8402FA FF0118FD
	v_mov_b32_dpp v67, v253 row_shl:8 row_mask:0xf bank_mask:0xf// 00000001BDA8: 7E8602FA FF0108FD
	v_mov_b32_e32 v68, v252                                    // 00000001BDB0: 7E8803FC
	v_mov_b32_e32 v69, v253                                    // 00000001BDB4: 7E8A03FD
	v_cndmask_b32_e64 v252, v68, v64, s[42:43]                 // 00000001BDB8: D10000FC 00AA8144
	v_cndmask_b32_e64 v254, v68, v65, s[78:79]                 // 00000001BDC0: D10000FE 013A8344
	v_cndmask_b32_e64 v253, v69, v66, s[42:43]                 // 00000001BDC8: D10000FD 00AA8545
	v_cndmask_b32_e64 v255, v69, v67, s[78:79]                 // 00000001BDD0: D10000FF 013A8745
	v_mul_f32_e32 v144, v20, v144                              // 00000001BDD8: 0B212114
	v_mul_f32_e32 v145, v20, v145                              // 00000001BDDC: 0B232314
	v_mul_f32_e32 v146, v20, v146                              // 00000001BDE0: 0B252514
	v_mul_f32_e32 v147, v20, v147                              // 00000001BDE4: 0B272714
	v_mul_f32_e32 v148, v20, v148                              // 00000001BDE8: 0B292914
	v_mul_f32_e32 v149, v20, v149                              // 00000001BDEC: 0B2B2B14
	v_mul_f32_e32 v150, v20, v150                              // 00000001BDF0: 0B2D2D14
	v_mul_f32_e32 v151, v20, v151                              // 00000001BDF4: 0B2F2F14
	v_mul_f32_e32 v152, v20, v152                              // 00000001BDF8: 0B313114
	v_mul_f32_e32 v153, v20, v153                              // 00000001BDFC: 0B333314
	v_mul_f32_e32 v154, v20, v154                              // 00000001BE00: 0B353514
	v_mul_f32_e32 v155, v20, v155                              // 00000001BE04: 0B373714
	v_mul_f32_e32 v156, v20, v156                              // 00000001BE08: 0B393914
	v_mul_f32_e32 v157, v20, v157                              // 00000001BE0C: 0B3B3B14
	v_mul_f32_e32 v158, v20, v158                              // 00000001BE10: 0B3D3D14
	v_mul_f32_e32 v159, v20, v159                              // 00000001BE14: 0B3F3F14
	v_mul_f32_dpp v144, v248, v144 quad_perm:[0,0,0,0] row_mask:0xf bank_mask:0xf// 00000001BE18: 0B2120FA FF0000F8
	v_mul_f32_dpp v145, v248, v145 quad_perm:[1,1,1,1] row_mask:0xf bank_mask:0xf// 00000001BE20: 0B2322FA FF0055F8
	v_mul_f32_dpp v146, v248, v146 quad_perm:[2,2,2,2] row_mask:0xf bank_mask:0xf// 00000001BE28: 0B2524FA FF00AAF8
	v_mul_f32_dpp v147, v248, v147 quad_perm:[3,3,3,3] row_mask:0xf bank_mask:0xf// 00000001BE30: 0B2726FA FF00FFF8
	v_mul_f32_dpp v148, v249, v148 quad_perm:[0,0,0,0] row_mask:0xf bank_mask:0xf// 00000001BE38: 0B2928FA FF0000F9
	v_mul_f32_dpp v149, v249, v149 quad_perm:[1,1,1,1] row_mask:0xf bank_mask:0xf// 00000001BE40: 0B2B2AFA FF0055F9
	v_mul_f32_dpp v150, v249, v150 quad_perm:[2,2,2,2] row_mask:0xf bank_mask:0xf// 00000001BE48: 0B2D2CFA FF00AAF9
	v_mul_f32_dpp v151, v249, v151 quad_perm:[3,3,3,3] row_mask:0xf bank_mask:0xf// 00000001BE50: 0B2F2EFA FF00FFF9
	v_mul_f32_dpp v152, v250, v152 quad_perm:[0,0,0,0] row_mask:0xf bank_mask:0xf// 00000001BE58: 0B3130FA FF0000FA
	v_mul_f32_dpp v153, v250, v153 quad_perm:[1,1,1,1] row_mask:0xf bank_mask:0xf// 00000001BE60: 0B3332FA FF0055FA
	v_mul_f32_dpp v154, v250, v154 quad_perm:[2,2,2,2] row_mask:0xf bank_mask:0xf// 00000001BE68: 0B3534FA FF00AAFA
	v_mul_f32_dpp v155, v250, v155 quad_perm:[3,3,3,3] row_mask:0xf bank_mask:0xf// 00000001BE70: 0B3736FA FF00FFFA
	v_mul_f32_dpp v156, v251, v156 quad_perm:[0,0,0,0] row_mask:0xf bank_mask:0xf// 00000001BE78: 0B3938FA FF0000FB
	v_mul_f32_dpp v157, v251, v157 quad_perm:[1,1,1,1] row_mask:0xf bank_mask:0xf// 00000001BE80: 0B3B3AFA FF0055FB
	v_mul_f32_dpp v158, v251, v158 quad_perm:[2,2,2,2] row_mask:0xf bank_mask:0xf// 00000001BE88: 0B3D3CFA FF00AAFB
	v_mul_f32_dpp v159, v251, v159 quad_perm:[3,3,3,3] row_mask:0xf bank_mask:0xf// 00000001BE90: 0B3F3EFA FF00FFFB
	s_cmp_le_i32 s90, s89                                      // 00000001BE98: BF05595A
	s_cbranch_scc1 label_6799                                  // 00000001BE9C: BF850071
	v_mov_b32_e32 v66, 0xff800000                              // 00000001BEA0: 7E8402FF FF800000
	s_mov_b32 s60, s90                                         // 00000001BEA8: BEBC005A
	s_add_u32 s61, s89, 0xff                                   // 00000001BEAC: 803DFF59 000000FF
	v_mov_b32_e32 v64, s61                                     // 00000001BEB4: 7E80023D
	v_lshrrev_b32_e32 v240, 4, v0                              // 00000001BEB8: 21E00084
	v_mul_i32_i24_e32 v240, 4, v240                            // 00000001BEBC: 0DE1E084
	v_add_u32_e32 v240, s60, v240                              // 00000001BEC0: 69E1E03C
	s_mov_b32 s61, 2                                           // 00000001BEC4: BEBD0082
	s_mul_i32 s60, 16, s7                                      // 00000001BEC8: 923C0790
	v_sub_u32_e64 v240, v240, s61                              // 00000001BECC: D13500F0 00007BF0
	v_add_u32_e32 v240, s60, v240                              // 00000001BED4: 69E1E03C
	v_add_u32_e32 v241, 1, v240                                // 00000001BED8: 69E3E081
	v_add_u32_e32 v242, 2, v240                                // 00000001BEDC: 69E5E082
	v_add_u32_e32 v243, 3, v240                                // 00000001BEE0: 69E7E083
	v_cmp_le_u32_e64 s[40:41], v240, v64                       // 00000001BEE4: D0CB0028 000281F0
	v_add_u32_e32 v240, 64, v240                               // 00000001BEEC: 69E1E0C0
	s_nop 0                                                    // 00000001BEF0: BF800000
	v_cndmask_b32_e64 v144, v66, v144, s[40:41]                // 00000001BEF4: D1000090 00A32142
	v_cmp_le_u32_e64 s[40:41], v241, v64                       // 00000001BEFC: D0CB0028 000281F1
	v_add_u32_e32 v241, 64, v241                               // 00000001BF04: 69E3E2C0
	s_nop 0                                                    // 00000001BF08: BF800000
	v_cndmask_b32_e64 v145, v66, v145, s[40:41]                // 00000001BF0C: D1000091 00A32342
	v_cmp_le_u32_e64 s[40:41], v242, v64                       // 00000001BF14: D0CB0028 000281F2
	v_add_u32_e32 v242, 64, v242                               // 00000001BF1C: 69E5E4C0
	s_nop 0                                                    // 00000001BF20: BF800000
	v_cndmask_b32_e64 v146, v66, v146, s[40:41]                // 00000001BF24: D1000092 00A32542
	v_cmp_le_u32_e64 s[40:41], v243, v64                       // 00000001BF2C: D0CB0028 000281F3
	v_add_u32_e32 v243, 64, v243                               // 00000001BF34: 69E7E6C0
	s_nop 0                                                    // 00000001BF38: BF800000
	v_cndmask_b32_e64 v147, v66, v147, s[40:41]                // 00000001BF3C: D1000093 00A32742
	v_cmp_le_u32_e64 s[40:41], v240, v64                       // 00000001BF44: D0CB0028 000281F0
	v_add_u32_e32 v240, 64, v240                               // 00000001BF4C: 69E1E0C0
	s_nop 0                                                    // 00000001BF50: BF800000
	v_cndmask_b32_e64 v148, v66, v148, s[40:41]                // 00000001BF54: D1000094 00A32942
	v_cmp_le_u32_e64 s[40:41], v241, v64                       // 00000001BF5C: D0CB0028 000281F1
	v_add_u32_e32 v241, 64, v241                               // 00000001BF64: 69E3E2C0
	s_nop 0                                                    // 00000001BF68: BF800000
	v_cndmask_b32_e64 v149, v66, v149, s[40:41]                // 00000001BF6C: D1000095 00A32B42
	v_cmp_le_u32_e64 s[40:41], v242, v64                       // 00000001BF74: D0CB0028 000281F2
	v_add_u32_e32 v242, 64, v242                               // 00000001BF7C: 69E5E4C0
	s_nop 0                                                    // 00000001BF80: BF800000
	v_cndmask_b32_e64 v150, v66, v150, s[40:41]                // 00000001BF84: D1000096 00A32D42
	v_cmp_le_u32_e64 s[40:41], v243, v64                       // 00000001BF8C: D0CB0028 000281F3
	v_add_u32_e32 v243, 64, v243                               // 00000001BF94: 69E7E6C0
	s_nop 0                                                    // 00000001BF98: BF800000
	v_cndmask_b32_e64 v151, v66, v151, s[40:41]                // 00000001BF9C: D1000097 00A32F42
	v_cmp_le_u32_e64 s[40:41], v240, v64                       // 00000001BFA4: D0CB0028 000281F0
	v_add_u32_e32 v240, 64, v240                               // 00000001BFAC: 69E1E0C0
	s_nop 0                                                    // 00000001BFB0: BF800000
	v_cndmask_b32_e64 v152, v66, v152, s[40:41]                // 00000001BFB4: D1000098 00A33142
	v_cmp_le_u32_e64 s[40:41], v241, v64                       // 00000001BFBC: D0CB0028 000281F1
	v_add_u32_e32 v241, 64, v241                               // 00000001BFC4: 69E3E2C0
	s_nop 0                                                    // 00000001BFC8: BF800000
	v_cndmask_b32_e64 v153, v66, v153, s[40:41]                // 00000001BFCC: D1000099 00A33342
	v_cmp_le_u32_e64 s[40:41], v242, v64                       // 00000001BFD4: D0CB0028 000281F2
	v_add_u32_e32 v242, 64, v242                               // 00000001BFDC: 69E5E4C0
	s_nop 0                                                    // 00000001BFE0: BF800000
	v_cndmask_b32_e64 v154, v66, v154, s[40:41]                // 00000001BFE4: D100009A 00A33542
	v_cmp_le_u32_e64 s[40:41], v243, v64                       // 00000001BFEC: D0CB0028 000281F3
	v_add_u32_e32 v243, 64, v243                               // 00000001BFF4: 69E7E6C0
	s_nop 0                                                    // 00000001BFF8: BF800000
	v_cndmask_b32_e64 v155, v66, v155, s[40:41]                // 00000001BFFC: D100009B 00A33742
	v_cmp_le_u32_e64 s[40:41], v240, v64                       // 00000001C004: D0CB0028 000281F0
	v_add_u32_e32 v240, 64, v240                               // 00000001C00C: 69E1E0C0
	s_nop 0                                                    // 00000001C010: BF800000
	v_cndmask_b32_e64 v156, v66, v156, s[40:41]                // 00000001C014: D100009C 00A33942
	v_cmp_le_u32_e64 s[40:41], v241, v64                       // 00000001C01C: D0CB0028 000281F1
	v_add_u32_e32 v241, 64, v241                               // 00000001C024: 69E3E2C0
	s_nop 0                                                    // 00000001C028: BF800000
	v_cndmask_b32_e64 v157, v66, v157, s[40:41]                // 00000001C02C: D100009D 00A33B42
	v_cmp_le_u32_e64 s[40:41], v242, v64                       // 00000001C034: D0CB0028 000281F2
	v_add_u32_e32 v242, 64, v242                               // 00000001C03C: 69E5E4C0
	s_nop 0                                                    // 00000001C040: BF800000
	v_cndmask_b32_e64 v158, v66, v158, s[40:41]                // 00000001C044: D100009E 00A33D42
	v_cmp_le_u32_e64 s[40:41], v243, v64                       // 00000001C04C: D0CB0028 000281F3
	v_add_u32_e32 v243, 64, v243                               // 00000001C054: 69E7E6C0
	s_nop 0                                                    // 00000001C058: BF800000
	v_cndmask_b32_e64 v159, v66, v159, s[40:41]                // 00000001C05C: D100009F 00A33F42

000000000001c064 <label_6799>:
	s_add_u32 s90, s91, s90                                    // 00000001C064: 805A5A5B
	s_and_b32 s60, s72, 0xff                                   // 00000001C068: 863CFF48 000000FF
	v_mov_b32_e32 v65, s60                                     // 00000001C070: 7E82023C
	v_lshrrev_b32_e32 v240, 4, v0                              // 00000001C074: 21E00084
	v_mul_i32_i24_e32 v240, 4, v240                            // 00000001C078: 0DE1E084
	s_mul_i32 s60, s7, 16                                      // 00000001C07C: 923C9007
	v_add_u32_e32 v240, s60, v240                              // 00000001C080: 69E1E03C
	v_add_u32_e32 v241, 1, v240                                // 00000001C084: 69E3E081
	v_add_u32_e32 v242, 2, v240                                // 00000001C088: 69E5E082
	v_add_u32_e32 v243, 3, v240                                // 00000001C08C: 69E7E083
	v_mov_b32_e32 v64, 0xff800000                              // 00000001C090: 7E8002FF FF800000
	v_cmp_lt_u32_e64 s[40:41], v240, v65                       // 00000001C098: D0C90028 000283F0
	v_add_u32_e32 v240, 64, v240                               // 00000001C0A0: 69E1E0C0
	s_nop 0                                                    // 00000001C0A4: BF800000
	v_cndmask_b32_e64 v144, v64, v144, s[40:41]                // 00000001C0A8: D1000090 00A32140
	v_cmp_lt_u32_e64 s[40:41], v241, v65                       // 00000001C0B0: D0C90028 000283F1
	v_add_u32_e32 v241, 64, v241                               // 00000001C0B8: 69E3E2C0
	s_nop 0                                                    // 00000001C0BC: BF800000
	v_cndmask_b32_e64 v145, v64, v145, s[40:41]                // 00000001C0C0: D1000091 00A32340
	v_cmp_lt_u32_e64 s[40:41], v242, v65                       // 00000001C0C8: D0C90028 000283F2
	v_add_u32_e32 v242, 64, v242                               // 00000001C0D0: 69E5E4C0
	s_nop 0                                                    // 00000001C0D4: BF800000
	v_cndmask_b32_e64 v146, v64, v146, s[40:41]                // 00000001C0D8: D1000092 00A32540
	v_cmp_lt_u32_e64 s[40:41], v243, v65                       // 00000001C0E0: D0C90028 000283F3
	v_add_u32_e32 v243, 64, v243                               // 00000001C0E8: 69E7E6C0
	s_nop 0                                                    // 00000001C0EC: BF800000
	v_cndmask_b32_e64 v147, v64, v147, s[40:41]                // 00000001C0F0: D1000093 00A32740
	v_cmp_lt_u32_e64 s[40:41], v240, v65                       // 00000001C0F8: D0C90028 000283F0
	v_add_u32_e32 v240, 64, v240                               // 00000001C100: 69E1E0C0
	s_nop 0                                                    // 00000001C104: BF800000
	v_cndmask_b32_e64 v148, v64, v148, s[40:41]                // 00000001C108: D1000094 00A32940
	v_cmp_lt_u32_e64 s[40:41], v241, v65                       // 00000001C110: D0C90028 000283F1
	v_add_u32_e32 v241, 64, v241                               // 00000001C118: 69E3E2C0
	s_nop 0                                                    // 00000001C11C: BF800000
	v_cndmask_b32_e64 v149, v64, v149, s[40:41]                // 00000001C120: D1000095 00A32B40
	v_cmp_lt_u32_e64 s[40:41], v242, v65                       // 00000001C128: D0C90028 000283F2
	v_add_u32_e32 v242, 64, v242                               // 00000001C130: 69E5E4C0
	s_nop 0                                                    // 00000001C134: BF800000
	v_cndmask_b32_e64 v150, v64, v150, s[40:41]                // 00000001C138: D1000096 00A32D40
	v_cmp_lt_u32_e64 s[40:41], v243, v65                       // 00000001C140: D0C90028 000283F3
	v_add_u32_e32 v243, 64, v243                               // 00000001C148: 69E7E6C0
	s_nop 0                                                    // 00000001C14C: BF800000
	v_cndmask_b32_e64 v151, v64, v151, s[40:41]                // 00000001C150: D1000097 00A32F40
	v_cmp_lt_u32_e64 s[40:41], v240, v65                       // 00000001C158: D0C90028 000283F0
	v_add_u32_e32 v240, 64, v240                               // 00000001C160: 69E1E0C0
	s_nop 0                                                    // 00000001C164: BF800000
	v_cndmask_b32_e64 v152, v64, v152, s[40:41]                // 00000001C168: D1000098 00A33140
	v_cmp_lt_u32_e64 s[40:41], v241, v65                       // 00000001C170: D0C90028 000283F1
	v_add_u32_e32 v241, 64, v241                               // 00000001C178: 69E3E2C0
	s_nop 0                                                    // 00000001C17C: BF800000
	v_cndmask_b32_e64 v153, v64, v153, s[40:41]                // 00000001C180: D1000099 00A33340
	v_cmp_lt_u32_e64 s[40:41], v242, v65                       // 00000001C188: D0C90028 000283F2
	v_add_u32_e32 v242, 64, v242                               // 00000001C190: 69E5E4C0
	s_nop 0                                                    // 00000001C194: BF800000
	v_cndmask_b32_e64 v154, v64, v154, s[40:41]                // 00000001C198: D100009A 00A33540
	v_cmp_lt_u32_e64 s[40:41], v243, v65                       // 00000001C1A0: D0C90028 000283F3
	v_add_u32_e32 v243, 64, v243                               // 00000001C1A8: 69E7E6C0
	s_nop 0                                                    // 00000001C1AC: BF800000
	v_cndmask_b32_e64 v155, v64, v155, s[40:41]                // 00000001C1B0: D100009B 00A33740
	v_cmp_lt_u32_e64 s[40:41], v240, v65                       // 00000001C1B8: D0C90028 000283F0
	v_add_u32_e32 v240, 64, v240                               // 00000001C1C0: 69E1E0C0
	s_nop 0                                                    // 00000001C1C4: BF800000
	v_cndmask_b32_e64 v156, v64, v156, s[40:41]                // 00000001C1C8: D100009C 00A33940
	v_cmp_lt_u32_e64 s[40:41], v241, v65                       // 00000001C1D0: D0C90028 000283F1
	v_add_u32_e32 v241, 64, v241                               // 00000001C1D8: 69E3E2C0
	s_nop 0                                                    // 00000001C1DC: BF800000
	v_cndmask_b32_e64 v157, v64, v157, s[40:41]                // 00000001C1E0: D100009D 00A33B40
	v_cmp_lt_u32_e64 s[40:41], v242, v65                       // 00000001C1E8: D0C90028 000283F2
	v_add_u32_e32 v242, 64, v242                               // 00000001C1F0: 69E5E4C0
	s_nop 0                                                    // 00000001C1F4: BF800000
	v_cndmask_b32_e64 v158, v64, v158, s[40:41]                // 00000001C1F8: D100009E 00A33D40
	v_cmp_lt_u32_e64 s[40:41], v243, v65                       // 00000001C200: D0C90028 000283F3
	v_add_u32_e32 v243, 64, v243                               // 00000001C208: 69E7E6C0
	s_nop 0                                                    // 00000001C20C: BF800000
	v_cndmask_b32_e64 v159, v64, v159, s[40:41]                // 00000001C210: D100009F 00A33F40
	v_mov_b32_e32 v48, v144                                    // 00000001C218: 7E600390
	v_max3_f32 v48, v144, v145, v48                            // 00000001C21C: D1D30030 04C32390
	v_max3_f32 v48, v146, v147, v48                            // 00000001C224: D1D30030 04C32792
	v_max3_f32 v48, v148, v149, v48                            // 00000001C22C: D1D30030 04C32B94
	v_max3_f32 v48, v150, v151, v48                            // 00000001C234: D1D30030 04C32F96
	v_max3_f32 v48, v152, v153, v48                            // 00000001C23C: D1D30030 04C33398
	v_max3_f32 v48, v154, v155, v48                            // 00000001C244: D1D30030 04C3379A
	v_max3_f32 v48, v156, v157, v48                            // 00000001C24C: D1D30030 04C33B9C
	v_max3_f32 v48, v158, v159, v48                            // 00000001C254: D1D30030 04C33F9E
	ds_write_b32 v8, v48 offset:16896                          // 00000001C25C: D81A4200 00003008
	v_mul_f32_e32 v224, v51, v224                              // 00000001C264: 0BC1C133
	v_mul_f32_e32 v225, v51, v225                              // 00000001C268: 0BC3C333
	v_mul_f32_e32 v226, v51, v226                              // 00000001C26C: 0BC5C533
	v_mul_f32_e32 v227, v51, v227                              // 00000001C270: 0BC7C733
	v_mul_f32_e32 v228, v51, v228                              // 00000001C274: 0BC9C933
	v_mul_f32_e32 v229, v51, v229                              // 00000001C278: 0BCBCB33
	v_mul_f32_e32 v230, v51, v230                              // 00000001C27C: 0BCDCD33
	v_mul_f32_e32 v231, v51, v231                              // 00000001C280: 0BCFCF33
	s_waitcnt lgkmcnt(0)                                       // 00000001C284: BF8CC07F
	s_barrier                                                  // 00000001C288: BF8A0000
	ds_read_b32 v64, v7 offset:16896                           // 00000001C28C: D86C4200 40000007
	ds_read_b32 v65, v7 offset:16960                           // 00000001C294: D86C4240 41000007
	ds_read_b32 v66, v7 offset:17024                           // 00000001C29C: D86C4280 42000007
	ds_read_b32 v67, v7 offset:17088                           // 00000001C2A4: D86C42C0 43000007
	ds_read_b32 v68, v7 offset:17152                           // 00000001C2AC: D86C4300 44000007
	ds_read_b32 v69, v7 offset:17216                           // 00000001C2B4: D86C4340 45000007
	ds_read_b32 v70, v7 offset:17280                           // 00000001C2BC: D86C4380 46000007
	ds_read_b32 v71, v7 offset:17344                           // 00000001C2C4: D86C43C0 47000007
	ds_read_b32 v72, v7 offset:17408                           // 00000001C2CC: D86C4400 48000007
	ds_read_b32 v73, v7 offset:17472                           // 00000001C2D4: D86C4440 49000007
	ds_read_b32 v74, v7 offset:17536                           // 00000001C2DC: D86C4480 4A000007
	ds_read_b32 v75, v7 offset:17600                           // 00000001C2E4: D86C44C0 4B000007
	ds_read_b32 v76, v7 offset:17664                           // 00000001C2EC: D86C4500 4C000007
	ds_read_b32 v77, v7 offset:17728                           // 00000001C2F4: D86C4540 4D000007
	ds_read_b32 v78, v7 offset:17792                           // 00000001C2FC: D86C4580 4E000007
	ds_read_b32 v79, v7 offset:17856                           // 00000001C304: D86C45C0 4F000007
	v_mul_f32_e32 v192, v46, v192                              // 00000001C30C: 0B81812E
	v_mul_f32_e32 v193, v46, v193                              // 00000001C310: 0B83832E
	v_mul_f32_e32 v194, v46, v194                              // 00000001C314: 0B85852E
	v_mul_f32_e32 v195, v46, v195                              // 00000001C318: 0B87872E
	v_mul_f32_e32 v196, v46, v196                              // 00000001C31C: 0B89892E
	v_mul_f32_e32 v197, v46, v197                              // 00000001C320: 0B8B8B2E
	v_mul_f32_e32 v198, v46, v198                              // 00000001C324: 0B8D8D2E
	v_mul_f32_e32 v199, v46, v199                              // 00000001C328: 0B8F8F2E
	s_waitcnt lgkmcnt(0)                                       // 00000001C32C: BF8CC07F
	v_max3_f32 v48, v64, v65, v48                              // 00000001C330: D1D30030 04C28340
	v_max3_f32 v48, v66, v67, v48                              // 00000001C338: D1D30030 04C28742
	v_max3_f32 v48, v68, v69, v48                              // 00000001C340: D1D30030 04C28B44
	v_max3_f32 v48, v70, v71, v48                              // 00000001C348: D1D30030 04C28F46
	v_max3_f32 v48, v72, v73, v48                              // 00000001C350: D1D30030 04C29348
	v_max3_f32 v48, v74, v75, v48                              // 00000001C358: D1D30030 04C2974A
	v_max3_f32 v48, v76, v77, v48                              // 00000001C360: D1D30030 04C29B4C
	v_max3_f32 v48, v78, v79, v48                              // 00000001C368: D1D30030 04C29F4E
	v_mov_b32_e32 v64, 0xff800000                              // 00000001C370: 7E8002FF FF800000
	v_cmp_eq_u32_e64 s[40:41], v64, v13                        // 00000001C378: D0CA0028 00021B40
	s_nop 1                                                    // 00000001C380: BF800001
	v_max_f32_e32 v15, v48, v13                                // 00000001C384: 161E1B30
	v_mul_f32_e32 v53, s64, v15                                // 00000001C388: 0A6A1E40
	v_fma_f32 v144, v144, s64, -v53                            // 00000001C38C: D1CB0090 84D48190
	v_fma_f32 v145, v145, s64, -v53                            // 00000001C394: D1CB0091 84D48191
	v_fma_f32 v146, v146, s64, -v53                            // 00000001C39C: D1CB0092 84D48192
	v_fma_f32 v147, v147, s64, -v53                            // 00000001C3A4: D1CB0093 84D48193
	v_fma_f32 v148, v148, s64, -v53                            // 00000001C3AC: D1CB0094 84D48194
	v_fma_f32 v149, v149, s64, -v53                            // 00000001C3B4: D1CB0095 84D48195
	v_fma_f32 v150, v150, s64, -v53                            // 00000001C3BC: D1CB0096 84D48196
	v_fma_f32 v151, v151, s64, -v53                            // 00000001C3C4: D1CB0097 84D48197
	v_fma_f32 v152, v152, s64, -v53                            // 00000001C3CC: D1CB0098 84D48198
	v_fma_f32 v153, v153, s64, -v53                            // 00000001C3D4: D1CB0099 84D48199
	v_fma_f32 v154, v154, s64, -v53                            // 00000001C3DC: D1CB009A 84D4819A
	v_fma_f32 v155, v155, s64, -v53                            // 00000001C3E4: D1CB009B 84D4819B
	v_fma_f32 v156, v156, s64, -v53                            // 00000001C3EC: D1CB009C 84D4819C
	v_fma_f32 v157, v157, s64, -v53                            // 00000001C3F4: D1CB009D 84D4819D
	v_fma_f32 v158, v158, s64, -v53                            // 00000001C3FC: D1CB009E 84D4819E
	v_fma_f32 v159, v159, s64, -v53                            // 00000001C404: D1CB009F 84D4819F
	v_exp_f32_e32 v144, v144                                   // 00000001C40C: 7F204190
	v_exp_f32_e32 v145, v145                                   // 00000001C410: 7F224191
	v_exp_f32_e32 v146, v146                                   // 00000001C414: 7F244192
	v_exp_f32_e32 v147, v147                                   // 00000001C418: 7F264193
	v_exp_f32_e32 v148, v148                                   // 00000001C41C: 7F284194
	v_exp_f32_e32 v149, v149                                   // 00000001C420: 7F2A4195
	v_exp_f32_e32 v150, v150                                   // 00000001C424: 7F2C4196
	v_exp_f32_e32 v151, v151                                   // 00000001C428: 7F2E4197
	v_exp_f32_e32 v152, v152                                   // 00000001C42C: 7F304198
	v_exp_f32_e32 v153, v153                                   // 00000001C430: 7F324199
	v_exp_f32_e32 v154, v154                                   // 00000001C434: 7F34419A
	v_exp_f32_e32 v155, v155                                   // 00000001C438: 7F36419B
	v_exp_f32_e32 v156, v156                                   // 00000001C43C: 7F38419C
	v_exp_f32_e32 v157, v157                                   // 00000001C440: 7F3A419D
	v_exp_f32_e32 v158, v158                                   // 00000001C444: 7F3C419E
	v_exp_f32_e32 v159, v159                                   // 00000001C448: 7F3E419F
	v_mul_f32_dpp v240, v252, v144 quad_perm:[0,0,0,0] row_mask:0xf bank_mask:0xf// 00000001C44C: 0BE120FA FF0000FC
	v_mul_f32_dpp v241, v252, v145 quad_perm:[1,1,1,1] row_mask:0xf bank_mask:0xf// 00000001C454: 0BE322FA FF0055FC
	v_mul_f32_dpp v242, v252, v146 quad_perm:[2,2,2,2] row_mask:0xf bank_mask:0xf// 00000001C45C: 0BE524FA FF00AAFC
	v_mul_f32_dpp v243, v252, v147 quad_perm:[3,3,3,3] row_mask:0xf bank_mask:0xf// 00000001C464: 0BE726FA FF00FFFC
	v_mul_f32_dpp v244, v253, v148 quad_perm:[0,0,0,0] row_mask:0xf bank_mask:0xf// 00000001C46C: 0BE928FA FF0000FD
	v_mul_f32_dpp v245, v253, v149 quad_perm:[1,1,1,1] row_mask:0xf bank_mask:0xf// 00000001C474: 0BEB2AFA FF0055FD
	v_mul_f32_dpp v246, v253, v150 quad_perm:[2,2,2,2] row_mask:0xf bank_mask:0xf// 00000001C47C: 0BED2CFA FF00AAFD
	v_mul_f32_dpp v247, v253, v151 quad_perm:[3,3,3,3] row_mask:0xf bank_mask:0xf// 00000001C484: 0BEF2EFA FF00FFFD
	v_mul_f32_dpp v248, v254, v152 quad_perm:[0,0,0,0] row_mask:0xf bank_mask:0xf// 00000001C48C: 0BF130FA FF0000FE
	v_mul_f32_dpp v249, v254, v153 quad_perm:[1,1,1,1] row_mask:0xf bank_mask:0xf// 00000001C494: 0BF332FA FF0055FE
	v_mul_f32_dpp v250, v254, v154 quad_perm:[2,2,2,2] row_mask:0xf bank_mask:0xf// 00000001C49C: 0BF534FA FF00AAFE
	v_mul_f32_dpp v251, v254, v155 quad_perm:[3,3,3,3] row_mask:0xf bank_mask:0xf// 00000001C4A4: 0BF736FA FF00FFFE
	v_mul_f32_dpp v252, v255, v156 quad_perm:[0,0,0,0] row_mask:0xf bank_mask:0xf// 00000001C4AC: 0BF938FA FF0000FF
	v_mul_f32_dpp v253, v255, v157 quad_perm:[1,1,1,1] row_mask:0xf bank_mask:0xf// 00000001C4B4: 0BFB3AFA FF0055FF
	v_mul_f32_dpp v254, v255, v158 quad_perm:[2,2,2,2] row_mask:0xf bank_mask:0xf// 00000001C4BC: 0BFD3CFA FF00AAFF
	v_mul_f32_dpp v255, v255, v159 quad_perm:[3,3,3,3] row_mask:0xf bank_mask:0xf// 00000001C4C4: 0BFF3EFA FF00FFFF
	v_mov_b32_e32 v48, 0x358637bd                              // 00000001C4CC: 7E6002FF 358637BD
	v_max3_f32 v48, |v240|, |v241|, v48                        // 00000001C4D4: D1D30330 04C3E3F0
	v_max3_f32 v48, |v242|, |v243|, v48                        // 00000001C4DC: D1D30330 04C3E7F2
	v_max3_f32 v48, |v244|, |v245|, v48                        // 00000001C4E4: D1D30330 04C3EBF4
	v_max3_f32 v48, |v246|, |v247|, v48                        // 00000001C4EC: D1D30330 04C3EFF6
	v_max3_f32 v48, |v248|, |v249|, v48                        // 00000001C4F4: D1D30330 04C3F3F8
	v_max3_f32 v48, |v250|, |v251|, v48                        // 00000001C4FC: D1D30330 04C3F7FA
	v_max3_f32 v48, |v252|, |v253|, v48                        // 00000001C504: D1D30330 04C3FBFC
	v_max3_f32 v48, |v254|, |v255|, v48                        // 00000001C50C: D1D30330 04C3FFFE
	ds_write_b32 v8, v48 offset:20992                          // 00000001C514: D81A5200 00003008
	v_sub_f32_e32 v51, v13, v15                                // 00000001C51C: 04661F0D
	v_cndmask_b32_e64 v51, v51, 0, s[40:41]                    // 00000001C520: D1000033 00A10133
	v_mov_b32_e32 v13, v15                                     // 00000001C528: 7E1A030F
	v_mul_f32_e32 v51, s64, v51                                // 00000001C52C: 0A666640
	v_exp_f32_e32 v51, v51                                     // 00000001C530: 7E664133
	s_waitcnt lgkmcnt(0)                                       // 00000001C534: BF8CC07F
	s_barrier                                                  // 00000001C538: BF8A0000
	ds_read_b32 v64, v7 offset:20992                           // 00000001C53C: D86C5200 40000007
	ds_read_b32 v65, v7 offset:21056                           // 00000001C544: D86C5240 41000007
	ds_read_b32 v66, v7 offset:21120                           // 00000001C54C: D86C5280 42000007
	ds_read_b32 v67, v7 offset:21184                           // 00000001C554: D86C52C0 43000007
	ds_read_b32 v68, v7 offset:21248                           // 00000001C55C: D86C5300 44000007
	ds_read_b32 v69, v7 offset:21312                           // 00000001C564: D86C5340 45000007
	ds_read_b32 v70, v7 offset:21376                           // 00000001C56C: D86C5380 46000007
	ds_read_b32 v71, v7 offset:21440                           // 00000001C574: D86C53C0 47000007
	ds_read_b32 v72, v7 offset:21504                           // 00000001C57C: D86C5400 48000007
	ds_read_b32 v73, v7 offset:21568                           // 00000001C584: D86C5440 49000007
	ds_read_b32 v74, v7 offset:21632                           // 00000001C58C: D86C5480 4A000007
	ds_read_b32 v75, v7 offset:21696                           // 00000001C594: D86C54C0 4B000007
	ds_read_b32 v76, v7 offset:21760                           // 00000001C59C: D86C5500 4C000007
	ds_read_b32 v77, v7 offset:21824                           // 00000001C5A4: D86C5540 4D000007
	ds_read_b32 v78, v7 offset:21888                           // 00000001C5AC: D86C5580 4E000007
	ds_read_b32 v79, v7 offset:21952                           // 00000001C5B4: D86C55C0 4F000007
	v_mul_f32_e32 v40, v51, v40                                // 00000001C5BC: 0A505133
	v_mov_b32_e32 v15, v144                                    // 00000001C5C0: 7E1E0390
	v_add_f32_e32 v15, v145, v15                               // 00000001C5C4: 021E1F91
	v_add_f32_e32 v15, v146, v15                               // 00000001C5C8: 021E1F92
	v_add_f32_e32 v15, v147, v15                               // 00000001C5CC: 021E1F93
	v_add_f32_e32 v15, v148, v15                               // 00000001C5D0: 021E1F94
	v_add_f32_e32 v15, v149, v15                               // 00000001C5D4: 021E1F95
	v_add_f32_e32 v15, v150, v15                               // 00000001C5D8: 021E1F96
	v_add_f32_e32 v15, v151, v15                               // 00000001C5DC: 021E1F97
	v_add_f32_e32 v15, v152, v15                               // 00000001C5E0: 021E1F98
	v_add_f32_e32 v15, v153, v15                               // 00000001C5E4: 021E1F99
	v_add_f32_e32 v15, v154, v15                               // 00000001C5E8: 021E1F9A
	v_add_f32_e32 v15, v155, v15                               // 00000001C5EC: 021E1F9B
	v_add_f32_e32 v15, v156, v15                               // 00000001C5F0: 021E1F9C
	v_add_f32_e32 v15, v157, v15                               // 00000001C5F4: 021E1F9D
	v_add_f32_e32 v15, v158, v15                               // 00000001C5F8: 021E1F9E
	v_add_f32_e32 v15, v159, v15                               // 00000001C5FC: 021E1F9F
	v_add_f32_e32 v40, v15, v40                                // 00000001C600: 0250510F
	s_waitcnt lgkmcnt(0)                                       // 00000001C604: BF8CC07F
	v_max3_f32 v48, |v64|, |v65|, v48                          // 00000001C608: D1D30330 04C28340
	v_max3_f32 v48, |v66|, |v67|, v48                          // 00000001C610: D1D30330 04C28742
	v_max3_f32 v48, |v68|, |v69|, v48                          // 00000001C618: D1D30330 04C28B44
	v_max3_f32 v48, |v70|, |v71|, v48                          // 00000001C620: D1D30330 04C28F46
	v_max3_f32 v48, |v72|, |v73|, v48                          // 00000001C628: D1D30330 04C29348
	v_max3_f32 v48, |v74|, |v75|, v48                          // 00000001C630: D1D30330 04C2974A
	v_max3_f32 v48, |v76|, |v77|, v48                          // 00000001C638: D1D30330 04C29B4C
	v_max3_f32 v48, |v78|, |v79|, v48                          // 00000001C640: D1D30330 04C29F4E
	s_nop 2                                                    // 00000001C648: BF800002
	v_rcp_f32_e32 v48, v48                                     // 00000001C64C: 7E604530
	s_nop 1                                                    // 00000001C650: BF800001
	v_mul_f32_e32 v48, 0x43e00000, v48                         // 00000001C654: 0A6060FF 43E00000
	v_mul_f32_e32 v144, v48, v240                              // 00000001C65C: 0B21E130
	v_mul_f32_e32 v145, v48, v241                              // 00000001C660: 0B23E330
	v_mul_f32_e32 v146, v48, v242                              // 00000001C664: 0B25E530
	v_mul_f32_e32 v147, v48, v243                              // 00000001C668: 0B27E730
	v_mul_f32_e32 v148, v48, v244                              // 00000001C66C: 0B29E930
	v_mul_f32_e32 v149, v48, v245                              // 00000001C670: 0B2BEB30
	v_mul_f32_e32 v150, v48, v246                              // 00000001C674: 0B2DED30
	v_mul_f32_e32 v151, v48, v247                              // 00000001C678: 0B2FEF30
	v_mul_f32_e32 v152, v48, v248                              // 00000001C67C: 0B31F130
	v_mul_f32_e32 v153, v48, v249                              // 00000001C680: 0B33F330
	v_mul_f32_e32 v154, v48, v250                              // 00000001C684: 0B35F530
	v_mul_f32_e32 v155, v48, v251                              // 00000001C688: 0B37F730
	v_mul_f32_e32 v156, v48, v252                              // 00000001C68C: 0B39F930
	v_mul_f32_e32 v157, v48, v253                              // 00000001C690: 0B3BFB30
	v_mul_f32_e32 v158, v48, v254                              // 00000001C694: 0B3DFD30
	v_mul_f32_e32 v159, v48, v255                              // 00000001C698: 0B3FFF30
	v_cvt_pk_fp8_f32 v144, v144, v145                          // 00000001C69C: D2A20090 00032390
	v_cvt_pk_fp8_f32 v144, v146, v147 op_sel:[0,0,1]           // 00000001C6A4: D2A24090 00032792
	v_cvt_pk_fp8_f32 v145, v148, v149                          // 00000001C6AC: D2A20091 00032B94
	v_cvt_pk_fp8_f32 v145, v150, v151 op_sel:[0,0,1]           // 00000001C6B4: D2A24091 00032F96
	v_cvt_pk_fp8_f32 v146, v152, v153                          // 00000001C6BC: D2A20092 00033398
	v_cvt_pk_fp8_f32 v146, v154, v155 op_sel:[0,0,1]           // 00000001C6C4: D2A24092 0003379A
	v_cvt_pk_fp8_f32 v147, v156, v157                          // 00000001C6CC: D2A20093 00033B9C
	v_cvt_pk_fp8_f32 v147, v158, v159 op_sel:[0,0,1]           // 00000001C6D4: D2A24093 00033F9E
	ds_write_b32 v10, v144 offset:33280                        // 00000001C6DC: D81A8200 0000900A
	ds_write_b32 v10, v145 offset:34304                        // 00000001C6E4: D81A8600 0000910A
	ds_write_b32 v10, v146 offset:35328                        // 00000001C6EC: D81A8A00 0000920A
	ds_write_b32 v10, v147 offset:36352                        // 00000001C6F4: D81A8E00 0000930A
	v_add_f32_e32 v224, v224, v192                             // 00000001C6FC: 03C181E0
	v_add_f32_e32 v225, v225, v193                             // 00000001C700: 03C383E1
	v_add_f32_e32 v226, v226, v194                             // 00000001C704: 03C585E2
	v_add_f32_e32 v227, v227, v195                             // 00000001C708: 03C787E3
	v_add_f32_e32 v228, v228, v196                             // 00000001C70C: 03C989E4
	v_add_f32_e32 v229, v229, v197                             // 00000001C710: 03CB8BE5
	v_add_f32_e32 v230, v230, v198                             // 00000001C714: 03CD8DE6
	v_add_f32_e32 v231, v231, v199                             // 00000001C718: 03CF8FE7
	v_rcp_f32_e32 v46, v48                                     // 00000001C71C: 7E5C4530
	s_waitcnt lgkmcnt(0)                                       // 00000001C720: BF8CC07F
	s_barrier                                                  // 00000001C724: BF8A0000
	ds_read_b64 v[144:145], v9 offset:33280                    // 00000001C728: D8EC8200 90000009
	ds_read_b64 v[146:147], v9 offset:33408                    // 00000001C730: D8EC8280 92000009
	ds_read_b64 v[148:149], v9 offset:34304                    // 00000001C738: D8EC8600 94000009
	ds_read_b64 v[150:151], v9 offset:34432                    // 00000001C740: D8EC8680 96000009
	ds_read_b64 v[152:153], v9 offset:35328                    // 00000001C748: D8EC8A00 98000009
	ds_read_b64 v[154:155], v9 offset:35456                    // 00000001C750: D8EC8A80 9A000009
	ds_read_b64 v[156:157], v9 offset:36352                    // 00000001C758: D8EC8E00 9C000009
	ds_read_b64 v[158:159], v9 offset:36480                    // 00000001C760: D8EC8E80 9E000009
	s_waitcnt vmcnt(0)                                         // 00000001C768: BF8C0F70
	s_barrier                                                  // 00000001C76C: BF8A0000
	v_mfma_f32_16x16x32_fp8_fp8 v[176:179], a[96:97], v[112:113], 0// 00000001C770: D3F300B0 0A02E160
	v_mfma_f32_16x16x32_fp8_fp8 v[176:179], a[98:99], v[114:115], v[176:179]// 00000001C778: D3F300B0 0EC2E562
	v_mfma_f32_16x16x32_fp8_fp8 v[176:179], a[100:101], v[116:117], v[176:179]// 00000001C780: D3F300B0 0EC2E964
	v_mfma_f32_16x16x32_fp8_fp8 v[176:179], a[102:103], v[118:119], v[176:179]// 00000001C788: D3F300B0 0EC2ED66
	v_mfma_f32_16x16x32_fp8_fp8 v[176:179], a[104:105], v[120:121], v[176:179]// 00000001C790: D3F300B0 0EC2F168
	v_mfma_f32_16x16x32_fp8_fp8 v[176:179], a[106:107], v[122:123], v[176:179]// 00000001C798: D3F300B0 0EC2F56A
	v_mfma_f32_16x16x32_fp8_fp8 v[176:179], a[108:109], v[124:125], v[176:179]// 00000001C7A0: D3F300B0 0EC2F96C
	v_mfma_f32_16x16x32_fp8_fp8 v[176:179], a[110:111], v[126:127], v[176:179]// 00000001C7A8: D3F300B0 0EC2FD6E
	v_mfma_f32_16x16x32_fp8_fp8 v[180:183], a[112:113], v[112:113], 0// 00000001C7B0: D3F300B4 0A02E170
	v_mfma_f32_16x16x32_fp8_fp8 v[180:183], a[114:115], v[114:115], v[180:183]// 00000001C7B8: D3F300B4 0ED2E572
	v_mfma_f32_16x16x32_fp8_fp8 v[180:183], a[116:117], v[116:117], v[180:183]// 00000001C7C0: D3F300B4 0ED2E974
	v_mfma_f32_16x16x32_fp8_fp8 v[180:183], a[118:119], v[118:119], v[180:183]// 00000001C7C8: D3F300B4 0ED2ED76
	v_mfma_f32_16x16x32_fp8_fp8 v[180:183], a[120:121], v[120:121], v[180:183]// 00000001C7D0: D3F300B4 0ED2F178
	v_mfma_f32_16x16x32_fp8_fp8 v[180:183], a[122:123], v[122:123], v[180:183]// 00000001C7D8: D3F300B4 0ED2F57A
	v_mfma_f32_16x16x32_fp8_fp8 v[180:183], a[124:125], v[124:125], v[180:183]// 00000001C7E0: D3F300B4 0ED2F97C
	v_mfma_f32_16x16x32_fp8_fp8 v[180:183], a[126:127], v[126:127], v[180:183]// 00000001C7E8: D3F300B4 0ED2FD7E
	v_mfma_f32_16x16x32_fp8_fp8 v[184:187], a[96:97], v[128:129], 0// 00000001C7F0: D3F300B8 0A030160
	v_mfma_f32_16x16x32_fp8_fp8 v[184:187], a[98:99], v[130:131], v[184:187]// 00000001C7F8: D3F300B8 0EE30562
	v_mfma_f32_16x16x32_fp8_fp8 v[184:187], a[100:101], v[132:133], v[184:187]// 00000001C800: D3F300B8 0EE30964
	v_mfma_f32_16x16x32_fp8_fp8 v[184:187], a[102:103], v[134:135], v[184:187]// 00000001C808: D3F300B8 0EE30D66
	v_mfma_f32_16x16x32_fp8_fp8 v[184:187], a[104:105], v[136:137], v[184:187]// 00000001C810: D3F300B8 0EE31168
	v_mfma_f32_16x16x32_fp8_fp8 v[184:187], a[106:107], v[138:139], v[184:187]// 00000001C818: D3F300B8 0EE3156A
	v_mfma_f32_16x16x32_fp8_fp8 v[184:187], a[108:109], v[140:141], v[184:187]// 00000001C820: D3F300B8 0EE3196C
	v_mfma_f32_16x16x32_fp8_fp8 v[184:187], a[110:111], v[142:143], v[184:187]// 00000001C828: D3F300B8 0EE31D6E
	v_mfma_f32_16x16x32_fp8_fp8 v[188:191], a[112:113], v[128:129], 0// 00000001C830: D3F300BC 0A030170
	v_mfma_f32_16x16x32_fp8_fp8 v[188:191], a[114:115], v[130:131], v[188:191]// 00000001C838: D3F300BC 0EF30572
	v_mfma_f32_16x16x32_fp8_fp8 v[188:191], a[116:117], v[132:133], v[188:191]// 00000001C840: D3F300BC 0EF30974
	v_mfma_f32_16x16x32_fp8_fp8 v[188:191], a[118:119], v[134:135], v[188:191]// 00000001C848: D3F300BC 0EF30D76
	v_mfma_f32_16x16x32_fp8_fp8 v[188:191], a[120:121], v[136:137], v[188:191]// 00000001C850: D3F300BC 0EF31178
	v_mfma_f32_16x16x32_fp8_fp8 v[188:191], a[122:123], v[138:139], v[188:191]// 00000001C858: D3F300BC 0EF3157A
	v_mfma_f32_16x16x32_fp8_fp8 v[188:191], a[124:125], v[140:141], v[188:191]// 00000001C860: D3F300BC 0EF3197C
	v_mfma_f32_16x16x32_fp8_fp8 v[188:191], a[126:127], v[142:143], v[188:191]// 00000001C868: D3F300BC 0EF31D7E
	v_mfma_f32_16x16x32_fp8_fp8 v[192:195], a[96:97], v[144:145], 0// 00000001C870: D3F300C0 0A032160
	v_mfma_f32_16x16x32_fp8_fp8 v[192:195], a[98:99], v[146:147], v[192:195]// 00000001C878: D3F300C0 0F032562
	v_mfma_f32_16x16x32_fp8_fp8 v[192:195], a[100:101], v[148:149], v[192:195]// 00000001C880: D3F300C0 0F032964
	v_mfma_f32_16x16x32_fp8_fp8 v[192:195], a[102:103], v[150:151], v[192:195]// 00000001C888: D3F300C0 0F032D66
	v_mfma_f32_16x16x32_fp8_fp8 v[192:195], a[104:105], v[152:153], v[192:195]// 00000001C890: D3F300C0 0F033168
	v_mfma_f32_16x16x32_fp8_fp8 v[192:195], a[106:107], v[154:155], v[192:195]// 00000001C898: D3F300C0 0F03356A
	v_mfma_f32_16x16x32_fp8_fp8 v[192:195], a[108:109], v[156:157], v[192:195]// 00000001C8A0: D3F300C0 0F03396C
	v_mfma_f32_16x16x32_fp8_fp8 v[192:195], a[110:111], v[158:159], v[192:195]// 00000001C8A8: D3F300C0 0F033D6E
	v_mfma_f32_16x16x32_fp8_fp8 v[196:199], a[112:113], v[144:145], 0// 00000001C8B0: D3F300C4 0A032170
	v_mfma_f32_16x16x32_fp8_fp8 v[196:199], a[114:115], v[146:147], v[196:199]// 00000001C8B8: D3F300C4 0F132572
	v_mfma_f32_16x16x32_fp8_fp8 v[196:199], a[116:117], v[148:149], v[196:199]// 00000001C8C0: D3F300C4 0F132974
	v_mfma_f32_16x16x32_fp8_fp8 v[196:199], a[118:119], v[150:151], v[196:199]// 00000001C8C8: D3F300C4 0F132D76
	v_mfma_f32_16x16x32_fp8_fp8 v[196:199], a[120:121], v[152:153], v[196:199]// 00000001C8D0: D3F300C4 0F133178
	v_mfma_f32_16x16x32_fp8_fp8 v[196:199], a[122:123], v[154:155], v[196:199]// 00000001C8D8: D3F300C4 0F13357A
	v_mfma_f32_16x16x32_fp8_fp8 v[196:199], a[124:125], v[156:157], v[196:199]// 00000001C8E0: D3F300C4 0F13397C
	v_mfma_f32_16x16x32_fp8_fp8 v[196:199], a[126:127], v[158:159], v[196:199]// 00000001C8E8: D3F300C4 0F133D7E
	s_nop 4                                                    // 00000001C8F0: BF800004
	s_branch label_69BE                                        // 00000001C8F4: BF820000

000000000001c8f8 <label_69BE>:
	v_mul_f32_e32 v208, v49, v208                              // 00000001C8F8: 0BA1A131
	v_mul_f32_e32 v209, v49, v209                              // 00000001C8FC: 0BA3A331
	v_mul_f32_e32 v210, v49, v210                              // 00000001C900: 0BA5A531
	v_mul_f32_e32 v211, v49, v211                              // 00000001C904: 0BA7A731
	v_mul_f32_e32 v212, v49, v212                              // 00000001C908: 0BA9A931
	v_mul_f32_e32 v213, v49, v213                              // 00000001C90C: 0BABAB31
	v_mul_f32_e32 v214, v49, v214                              // 00000001C910: 0BADAD31
	v_mul_f32_e32 v215, v49, v215                              // 00000001C914: 0BAFAF31
	v_mul_f32_e32 v176, v44, v176                              // 00000001C918: 0B61612C
	v_mul_f32_e32 v177, v44, v177                              // 00000001C91C: 0B63632C
	v_mul_f32_e32 v178, v44, v178                              // 00000001C920: 0B65652C
	v_mul_f32_e32 v179, v44, v179                              // 00000001C924: 0B67672C
	v_mul_f32_e32 v180, v44, v180                              // 00000001C928: 0B69692C
	v_mul_f32_e32 v181, v44, v181                              // 00000001C92C: 0B6B6B2C
	v_mul_f32_e32 v182, v44, v182                              // 00000001C930: 0B6D6D2C
	v_mul_f32_e32 v183, v44, v183                              // 00000001C934: 0B6F6F2C
	v_add_f32_e32 v208, v208, v176                             // 00000001C938: 03A161D0
	v_add_f32_e32 v209, v209, v177                             // 00000001C93C: 03A363D1
	v_add_f32_e32 v210, v210, v178                             // 00000001C940: 03A565D2
	v_add_f32_e32 v211, v211, v179                             // 00000001C944: 03A767D3
	v_add_f32_e32 v212, v212, v180                             // 00000001C948: 03A969D4
	v_add_f32_e32 v213, v213, v181                             // 00000001C94C: 03AB6BD5
	v_add_f32_e32 v214, v214, v182                             // 00000001C950: 03AD6DD6
	v_add_f32_e32 v215, v215, v183                             // 00000001C954: 03AF6FD7
	ds_write_b32 v8, v38 offset:16896                          // 00000001C958: D81A4200 00002608
	s_waitcnt lgkmcnt(0)                                       // 00000001C960: BF8CC07F
	s_barrier                                                  // 00000001C964: BF8A0000
	ds_read_b32 v64, v7 offset:16896                           // 00000001C968: D86C4200 40000007
	ds_read_b32 v65, v7 offset:16960                           // 00000001C970: D86C4240 41000007
	ds_read_b32 v66, v7 offset:17024                           // 00000001C978: D86C4280 42000007
	ds_read_b32 v67, v7 offset:17088                           // 00000001C980: D86C42C0 43000007
	ds_read_b32 v68, v7 offset:17152                           // 00000001C988: D86C4300 44000007
	ds_read_b32 v69, v7 offset:17216                           // 00000001C990: D86C4340 45000007
	ds_read_b32 v70, v7 offset:17280                           // 00000001C998: D86C4380 46000007
	ds_read_b32 v71, v7 offset:17344                           // 00000001C9A0: D86C43C0 47000007
	ds_read_b32 v72, v7 offset:17408                           // 00000001C9A8: D86C4400 48000007
	ds_read_b32 v73, v7 offset:17472                           // 00000001C9B0: D86C4440 49000007
	ds_read_b32 v74, v7 offset:17536                           // 00000001C9B8: D86C4480 4A000007
	ds_read_b32 v75, v7 offset:17600                           // 00000001C9C0: D86C44C0 4B000007
	ds_read_b32 v76, v7 offset:17664                           // 00000001C9C8: D86C4500 4C000007
	ds_read_b32 v77, v7 offset:17728                           // 00000001C9D0: D86C4540 4D000007
	ds_read_b32 v78, v7 offset:17792                           // 00000001C9D8: D86C4580 4E000007
	ds_read_b32 v79, v7 offset:17856                           // 00000001C9E0: D86C45C0 4F000007
	s_waitcnt lgkmcnt(0)                                       // 00000001C9E8: BF8CC07F
	v_mov_b32_e32 v38, 0                                       // 00000001C9EC: 7E4C0280
	v_add_f32_e32 v38, v64, v38                                // 00000001C9F0: 024C4D40
	v_add_f32_e32 v38, v65, v38                                // 00000001C9F4: 024C4D41
	v_add_f32_e32 v38, v66, v38                                // 00000001C9F8: 024C4D42
	v_add_f32_e32 v38, v67, v38                                // 00000001C9FC: 024C4D43
	v_add_f32_e32 v38, v68, v38                                // 00000001CA00: 024C4D44
	v_add_f32_e32 v38, v69, v38                                // 00000001CA04: 024C4D45
	v_add_f32_e32 v38, v70, v38                                // 00000001CA08: 024C4D46
	v_add_f32_e32 v38, v71, v38                                // 00000001CA0C: 024C4D47
	v_add_f32_e32 v38, v72, v38                                // 00000001CA10: 024C4D48
	v_add_f32_e32 v38, v73, v38                                // 00000001CA14: 024C4D49
	v_add_f32_e32 v38, v74, v38                                // 00000001CA18: 024C4D4A
	v_add_f32_e32 v38, v75, v38                                // 00000001CA1C: 024C4D4B
	v_add_f32_e32 v38, v76, v38                                // 00000001CA20: 024C4D4C
	v_add_f32_e32 v38, v77, v38                                // 00000001CA24: 024C4D4D
	v_add_f32_e32 v38, v78, v38                                // 00000001CA28: 024C4D4E
	v_add_f32_e32 v38, v79, v38                                // 00000001CA2C: 024C4D4F
	s_nop 1                                                    // 00000001CA30: BF800001
	v_rcp_f32_e32 v38, v38                                     // 00000001CA34: 7E4C4526
	s_nop 1                                                    // 00000001CA38: BF800001
	v_mul_f32_e32 v208, v38, v208                              // 00000001CA3C: 0BA1A126
	v_mul_f32_e32 v209, v38, v209                              // 00000001CA40: 0BA3A326
	v_mul_f32_e32 v210, v38, v210                              // 00000001CA44: 0BA5A526
	v_mul_f32_e32 v211, v38, v211                              // 00000001CA48: 0BA7A726
	v_mul_f32_e32 v212, v38, v212                              // 00000001CA4C: 0BA9A926
	v_mul_f32_e32 v213, v38, v213                              // 00000001CA50: 0BABAB26
	v_mul_f32_e32 v214, v38, v214                              // 00000001CA54: 0BADAD26
	v_mul_f32_e32 v215, v38, v215                              // 00000001CA58: 0BAFAF26
	v_mov_b32_e32 v19, 0xffff0000                              // 00000001CA5C: 7E2602FF FFFF0000
	v_mov_b32_e32 v20, 0x7fff0000                              // 00000001CA64: 7E2802FF 7FFF0000
	v_mov_b32_e32 v21, 0x7fff                                  // 00000001CA6C: 7E2A02FF 00007FFF
	v_cmp_u_f32_e64 s[40:41], v208, v208                       // 00000001CA74: D0480028 0003A1D0
	v_add3_u32 v18, v208, v21, 1                               // 00000001CA7C: D1FF0012 02062BD0
	v_cndmask_b32_e64 v64, v18, v20, s[40:41]                  // 00000001CA84: D1000040 00A22912
	v_cmp_u_f32_e64 s[40:41], v209, v209                       // 00000001CA8C: D0480028 0003A3D1
	v_add3_u32 v18, v209, v21, 1                               // 00000001CA94: D1FF0012 02062BD1
	v_cndmask_b32_e64 v65, v18, v20, s[40:41]                  // 00000001CA9C: D1000041 00A22912
	v_perm_b32 v208, v65, v64, s52                             // 00000001CAA4: D1ED00D0 00D28141
	v_cmp_u_f32_e64 s[40:41], v210, v210                       // 00000001CAAC: D0480028 0003A5D2
	v_add3_u32 v18, v210, v21, 1                               // 00000001CAB4: D1FF0012 02062BD2
	v_cndmask_b32_e64 v64, v18, v20, s[40:41]                  // 00000001CABC: D1000040 00A22912
	v_cmp_u_f32_e64 s[40:41], v211, v211                       // 00000001CAC4: D0480028 0003A7D3
	v_add3_u32 v18, v211, v21, 1                               // 00000001CACC: D1FF0012 02062BD3
	v_cndmask_b32_e64 v65, v18, v20, s[40:41]                  // 00000001CAD4: D1000041 00A22912
	v_perm_b32 v209, v65, v64, s52                             // 00000001CADC: D1ED00D1 00D28141
	v_cmp_u_f32_e64 s[40:41], v212, v212                       // 00000001CAE4: D0480028 0003A9D4
	v_add3_u32 v18, v212, v21, 1                               // 00000001CAEC: D1FF0012 02062BD4
	v_cndmask_b32_e64 v64, v18, v20, s[40:41]                  // 00000001CAF4: D1000040 00A22912
	v_cmp_u_f32_e64 s[40:41], v213, v213                       // 00000001CAFC: D0480028 0003ABD5
	v_add3_u32 v18, v213, v21, 1                               // 00000001CB04: D1FF0012 02062BD5
	v_cndmask_b32_e64 v65, v18, v20, s[40:41]                  // 00000001CB0C: D1000041 00A22912
	v_perm_b32 v210, v65, v64, s52                             // 00000001CB14: D1ED00D2 00D28141
	v_cmp_u_f32_e64 s[40:41], v214, v214                       // 00000001CB1C: D0480028 0003ADD6
	v_add3_u32 v18, v214, v21, 1                               // 00000001CB24: D1FF0012 02062BD6
	v_cndmask_b32_e64 v64, v18, v20, s[40:41]                  // 00000001CB2C: D1000040 00A22912
	v_cmp_u_f32_e64 s[40:41], v215, v215                       // 00000001CB34: D0480028 0003AFD7
	v_add3_u32 v18, v215, v21, 1                               // 00000001CB3C: D1FF0012 02062BD7
	v_cndmask_b32_e64 v65, v18, v20, s[40:41]                  // 00000001CB44: D1000041 00A22912
	v_perm_b32 v211, v65, v64, s52                             // 00000001CB4C: D1ED00D3 00D28141
	s_nop 1                                                    // 00000001CB54: BF800001
	v_lshrrev_b32_e32 v64, 4, v0                               // 00000001CB58: 20800084
	v_mul_i32_i24_e32 v68, 34, v64                             // 00000001CB5C: 0C8880A2
	v_and_b32_e32 v64, 15, v0                                  // 00000001CB60: 2680008F
	v_mul_i32_i24_e32 v65, 2, v64                              // 00000001CB64: 0C828082
	v_add_u32_e32 v68, v65, v68                                // 00000001CB68: 68888941
	s_mul_i32 s60, s7, 0x88                                    // 00000001CB6C: 923CFF07 00000088
	v_add_u32_e32 v68, s60, v68                                // 00000001CB74: 6888883C
	v_lshlrev_b32_e32 v68, 2, v68                              // 00000001CB78: 24888882
	ds_write_b64 v68, v[208:209] offset:41472                  // 00000001CB7C: D89AA200 0000D044
	ds_write_b64 v68, v[210:211] offset:43648                  // 00000001CB84: D89AAA80 0000D244
	v_lshrrev_b32_e32 v64, 1, v0                               // 00000001CB8C: 20800081
	v_mul_i32_i24_e32 v68, 34, v64                             // 00000001CB90: 0C8880A2
	v_and_b32_e32 v65, 1, v0                                   // 00000001CB94: 26820081
	v_add_u32_e32 v68, v65, v68                                // 00000001CB98: 68888941
	s_mul_i32 s60, s7, 2                                       // 00000001CB9C: 923C8207
	v_add_u32_e32 v68, s60, v68                                // 00000001CBA0: 6888883C
	v_lshlrev_b32_e32 v68, 2, v68                              // 00000001CBA4: 24888882
	s_waitcnt lgkmcnt(0)                                       // 00000001CBA8: BF8CC07F
	s_barrier                                                  // 00000001CBAC: BF8A0000
	ds_read_b32 v208, v68 offset:41472                         // 00000001CBB0: D86CA200 D0000044
	ds_read_b32 v209, v68 offset:41504                         // 00000001CBB8: D86CA220 D1000044
	ds_read_b32 v210, v68 offset:41536                         // 00000001CBC0: D86CA240 D2000044
	ds_read_b32 v211, v68 offset:41568                         // 00000001CBC8: D86CA260 D3000044
	s_mul_i32 s60, s7, 0x100                                   // 00000001CBD0: 923CFF07 00000100
	v_lshlrev_b32_e32 v64, 2, v0                               // 00000001CBD8: 24800082
	v_add_u32_e64 v64, v64, s60                                // 00000001CBDC: D1340040 00007940
	s_waitcnt lgkmcnt(0)                                       // 00000001CBE4: BF8CC07F
	buffer_store_dword v208, v64, s[8:11], 0 offen             // 00000001CBE8: E0701000 8002D040
	buffer_store_dword v209, v64, s[8:11], 0 offen offset:1024 // 00000001CBF0: E0701400 8002D140
	buffer_store_dword v210, v64, s[8:11], 0 offen offset:2048 // 00000001CBF8: E0701800 8002D240
	buffer_store_dword v211, v64, s[8:11], 0 offen offset:3072 // 00000001CC00: E0701C00 8002D340
	s_add_u32 s8, s75, s8                                      // 00000001CC08: 8008084B
	s_addc_u32 s9, 0, s9                                       // 00000001CC0C: 82090980
	v_mul_f32_e32 v216, v50, v216                              // 00000001CC10: 0BB1B132
	v_mul_f32_e32 v217, v50, v217                              // 00000001CC14: 0BB3B332
	v_mul_f32_e32 v218, v50, v218                              // 00000001CC18: 0BB5B532
	v_mul_f32_e32 v219, v50, v219                              // 00000001CC1C: 0BB7B732
	v_mul_f32_e32 v220, v50, v220                              // 00000001CC20: 0BB9B932
	v_mul_f32_e32 v221, v50, v221                              // 00000001CC24: 0BBBBB32
	v_mul_f32_e32 v222, v50, v222                              // 00000001CC28: 0BBDBD32
	v_mul_f32_e32 v223, v50, v223                              // 00000001CC2C: 0BBFBF32
	v_mul_f32_e32 v184, v45, v184                              // 00000001CC30: 0B71712D
	v_mul_f32_e32 v185, v45, v185                              // 00000001CC34: 0B73732D
	v_mul_f32_e32 v186, v45, v186                              // 00000001CC38: 0B75752D
	v_mul_f32_e32 v187, v45, v187                              // 00000001CC3C: 0B77772D
	v_mul_f32_e32 v188, v45, v188                              // 00000001CC40: 0B79792D
	v_mul_f32_e32 v189, v45, v189                              // 00000001CC44: 0B7B7B2D
	v_mul_f32_e32 v190, v45, v190                              // 00000001CC48: 0B7D7D2D
	v_mul_f32_e32 v191, v45, v191                              // 00000001CC4C: 0B7F7F2D
	v_add_f32_e32 v216, v216, v184                             // 00000001CC50: 03B171D8
	v_add_f32_e32 v217, v217, v185                             // 00000001CC54: 03B373D9
	v_add_f32_e32 v218, v218, v186                             // 00000001CC58: 03B575DA
	v_add_f32_e32 v219, v219, v187                             // 00000001CC5C: 03B777DB
	v_add_f32_e32 v220, v220, v188                             // 00000001CC60: 03B979DC
	v_add_f32_e32 v221, v221, v189                             // 00000001CC64: 03BB7BDD
	v_add_f32_e32 v222, v222, v190                             // 00000001CC68: 03BD7DDE
	v_add_f32_e32 v223, v223, v191                             // 00000001CC6C: 03BF7FDF
	ds_write_b32 v8, v39 offset:16896                          // 00000001CC70: D81A4200 00002708
	s_waitcnt lgkmcnt(0)                                       // 00000001CC78: BF8CC07F
	s_barrier                                                  // 00000001CC7C: BF8A0000
	ds_read_b32 v64, v7 offset:16896                           // 00000001CC80: D86C4200 40000007
	ds_read_b32 v65, v7 offset:16960                           // 00000001CC88: D86C4240 41000007
	ds_read_b32 v66, v7 offset:17024                           // 00000001CC90: D86C4280 42000007
	ds_read_b32 v67, v7 offset:17088                           // 00000001CC98: D86C42C0 43000007
	ds_read_b32 v68, v7 offset:17152                           // 00000001CCA0: D86C4300 44000007
	ds_read_b32 v69, v7 offset:17216                           // 00000001CCA8: D86C4340 45000007
	ds_read_b32 v70, v7 offset:17280                           // 00000001CCB0: D86C4380 46000007
	ds_read_b32 v71, v7 offset:17344                           // 00000001CCB8: D86C43C0 47000007
	ds_read_b32 v72, v7 offset:17408                           // 00000001CCC0: D86C4400 48000007
	ds_read_b32 v73, v7 offset:17472                           // 00000001CCC8: D86C4440 49000007
	ds_read_b32 v74, v7 offset:17536                           // 00000001CCD0: D86C4480 4A000007
	ds_read_b32 v75, v7 offset:17600                           // 00000001CCD8: D86C44C0 4B000007
	ds_read_b32 v76, v7 offset:17664                           // 00000001CCE0: D86C4500 4C000007
	ds_read_b32 v77, v7 offset:17728                           // 00000001CCE8: D86C4540 4D000007
	ds_read_b32 v78, v7 offset:17792                           // 00000001CCF0: D86C4580 4E000007
	ds_read_b32 v79, v7 offset:17856                           // 00000001CCF8: D86C45C0 4F000007
	s_waitcnt lgkmcnt(0)                                       // 00000001CD00: BF8CC07F
	v_mov_b32_e32 v39, 0                                       // 00000001CD04: 7E4E0280
	v_add_f32_e32 v39, v64, v39                                // 00000001CD08: 024E4F40
	v_add_f32_e32 v39, v65, v39                                // 00000001CD0C: 024E4F41
	v_add_f32_e32 v39, v66, v39                                // 00000001CD10: 024E4F42
	v_add_f32_e32 v39, v67, v39                                // 00000001CD14: 024E4F43
	v_add_f32_e32 v39, v68, v39                                // 00000001CD18: 024E4F44
	v_add_f32_e32 v39, v69, v39                                // 00000001CD1C: 024E4F45
	v_add_f32_e32 v39, v70, v39                                // 00000001CD20: 024E4F46
	v_add_f32_e32 v39, v71, v39                                // 00000001CD24: 024E4F47
	v_add_f32_e32 v39, v72, v39                                // 00000001CD28: 024E4F48
	v_add_f32_e32 v39, v73, v39                                // 00000001CD2C: 024E4F49
	v_add_f32_e32 v39, v74, v39                                // 00000001CD30: 024E4F4A
	v_add_f32_e32 v39, v75, v39                                // 00000001CD34: 024E4F4B
	v_add_f32_e32 v39, v76, v39                                // 00000001CD38: 024E4F4C
	v_add_f32_e32 v39, v77, v39                                // 00000001CD3C: 024E4F4D
	v_add_f32_e32 v39, v78, v39                                // 00000001CD40: 024E4F4E
	v_add_f32_e32 v39, v79, v39                                // 00000001CD44: 024E4F4F
	s_nop 1                                                    // 00000001CD48: BF800001
	v_rcp_f32_e32 v39, v39                                     // 00000001CD4C: 7E4E4527
	s_nop 1                                                    // 00000001CD50: BF800001
	v_mul_f32_e32 v216, v39, v216                              // 00000001CD54: 0BB1B127
	v_mul_f32_e32 v217, v39, v217                              // 00000001CD58: 0BB3B327
	v_mul_f32_e32 v218, v39, v218                              // 00000001CD5C: 0BB5B527
	v_mul_f32_e32 v219, v39, v219                              // 00000001CD60: 0BB7B727
	v_mul_f32_e32 v220, v39, v220                              // 00000001CD64: 0BB9B927
	v_mul_f32_e32 v221, v39, v221                              // 00000001CD68: 0BBBBB27
	v_mul_f32_e32 v222, v39, v222                              // 00000001CD6C: 0BBDBD27
	v_mul_f32_e32 v223, v39, v223                              // 00000001CD70: 0BBFBF27
	v_mov_b32_e32 v19, 0xffff0000                              // 00000001CD74: 7E2602FF FFFF0000
	v_mov_b32_e32 v20, 0x7fff0000                              // 00000001CD7C: 7E2802FF 7FFF0000
	v_mov_b32_e32 v21, 0x7fff                                  // 00000001CD84: 7E2A02FF 00007FFF
	v_cmp_u_f32_e64 s[40:41], v216, v216                       // 00000001CD8C: D0480028 0003B1D8
	v_add3_u32 v18, v216, v21, 1                               // 00000001CD94: D1FF0012 02062BD8
	v_cndmask_b32_e64 v64, v18, v20, s[40:41]                  // 00000001CD9C: D1000040 00A22912
	v_cmp_u_f32_e64 s[40:41], v217, v217                       // 00000001CDA4: D0480028 0003B3D9
	v_add3_u32 v18, v217, v21, 1                               // 00000001CDAC: D1FF0012 02062BD9
	v_cndmask_b32_e64 v65, v18, v20, s[40:41]                  // 00000001CDB4: D1000041 00A22912
	v_perm_b32 v216, v65, v64, s52                             // 00000001CDBC: D1ED00D8 00D28141
	v_cmp_u_f32_e64 s[40:41], v218, v218                       // 00000001CDC4: D0480028 0003B5DA
	v_add3_u32 v18, v218, v21, 1                               // 00000001CDCC: D1FF0012 02062BDA
	v_cndmask_b32_e64 v64, v18, v20, s[40:41]                  // 00000001CDD4: D1000040 00A22912
	v_cmp_u_f32_e64 s[40:41], v219, v219                       // 00000001CDDC: D0480028 0003B7DB
	v_add3_u32 v18, v219, v21, 1                               // 00000001CDE4: D1FF0012 02062BDB
	v_cndmask_b32_e64 v65, v18, v20, s[40:41]                  // 00000001CDEC: D1000041 00A22912
	v_perm_b32 v217, v65, v64, s52                             // 00000001CDF4: D1ED00D9 00D28141
	v_cmp_u_f32_e64 s[40:41], v220, v220                       // 00000001CDFC: D0480028 0003B9DC
	v_add3_u32 v18, v220, v21, 1                               // 00000001CE04: D1FF0012 02062BDC
	v_cndmask_b32_e64 v64, v18, v20, s[40:41]                  // 00000001CE0C: D1000040 00A22912
	v_cmp_u_f32_e64 s[40:41], v221, v221                       // 00000001CE14: D0480028 0003BBDD
	v_add3_u32 v18, v221, v21, 1                               // 00000001CE1C: D1FF0012 02062BDD
	v_cndmask_b32_e64 v65, v18, v20, s[40:41]                  // 00000001CE24: D1000041 00A22912
	v_perm_b32 v218, v65, v64, s52                             // 00000001CE2C: D1ED00DA 00D28141
	v_cmp_u_f32_e64 s[40:41], v222, v222                       // 00000001CE34: D0480028 0003BDDE
	v_add3_u32 v18, v222, v21, 1                               // 00000001CE3C: D1FF0012 02062BDE
	v_cndmask_b32_e64 v64, v18, v20, s[40:41]                  // 00000001CE44: D1000040 00A22912
	v_cmp_u_f32_e64 s[40:41], v223, v223                       // 00000001CE4C: D0480028 0003BFDF
	v_add3_u32 v18, v223, v21, 1                               // 00000001CE54: D1FF0012 02062BDF
	v_cndmask_b32_e64 v65, v18, v20, s[40:41]                  // 00000001CE5C: D1000041 00A22912
	v_perm_b32 v219, v65, v64, s52                             // 00000001CE64: D1ED00DB 00D28141
	s_nop 1                                                    // 00000001CE6C: BF800001
	v_lshrrev_b32_e32 v64, 4, v0                               // 00000001CE70: 20800084
	v_mul_i32_i24_e32 v68, 34, v64                             // 00000001CE74: 0C8880A2
	v_and_b32_e32 v64, 15, v0                                  // 00000001CE78: 2680008F
	v_mul_i32_i24_e32 v65, 2, v64                              // 00000001CE7C: 0C828082
	v_add_u32_e32 v68, v65, v68                                // 00000001CE80: 68888941
	s_mul_i32 s60, s7, 0x88                                    // 00000001CE84: 923CFF07 00000088
	v_add_u32_e32 v68, s60, v68                                // 00000001CE8C: 6888883C
	v_lshlrev_b32_e32 v68, 2, v68                              // 00000001CE90: 24888882
	ds_write_b64 v68, v[216:217] offset:41472                  // 00000001CE94: D89AA200 0000D844
	ds_write_b64 v68, v[218:219] offset:43648                  // 00000001CE9C: D89AAA80 0000DA44
	v_lshrrev_b32_e32 v64, 1, v0                               // 00000001CEA4: 20800081
	v_mul_i32_i24_e32 v68, 34, v64                             // 00000001CEA8: 0C8880A2
	v_and_b32_e32 v65, 1, v0                                   // 00000001CEAC: 26820081
	v_add_u32_e32 v68, v65, v68                                // 00000001CEB0: 68888941
	s_mul_i32 s60, s7, 2                                       // 00000001CEB4: 923C8207
	v_add_u32_e32 v68, s60, v68                                // 00000001CEB8: 6888883C
	v_lshlrev_b32_e32 v68, 2, v68                              // 00000001CEBC: 24888882
	s_waitcnt lgkmcnt(0)                                       // 00000001CEC0: BF8CC07F
	s_barrier                                                  // 00000001CEC4: BF8A0000
	ds_read_b32 v216, v68 offset:41472                         // 00000001CEC8: D86CA200 D8000044
	ds_read_b32 v217, v68 offset:41504                         // 00000001CED0: D86CA220 D9000044
	ds_read_b32 v218, v68 offset:41536                         // 00000001CED8: D86CA240 DA000044
	ds_read_b32 v219, v68 offset:41568                         // 00000001CEE0: D86CA260 DB000044
	s_mul_i32 s60, s7, 0x100                                   // 00000001CEE8: 923CFF07 00000100
	v_lshlrev_b32_e32 v64, 2, v0                               // 00000001CEF0: 24800082
	v_add_u32_e64 v64, v64, s60                                // 00000001CEF4: D1340040 00007940
	s_waitcnt lgkmcnt(0)                                       // 00000001CEFC: BF8CC07F
	buffer_store_dword v216, v64, s[8:11], 0 offen             // 00000001CF00: E0701000 8002D840
	buffer_store_dword v217, v64, s[8:11], 0 offen offset:1024 // 00000001CF08: E0701400 8002D940
	buffer_store_dword v218, v64, s[8:11], 0 offen offset:2048 // 00000001CF10: E0701800 8002DA40
	buffer_store_dword v219, v64, s[8:11], 0 offen offset:3072 // 00000001CF18: E0701C00 8002DB40
	s_add_u32 s8, s75, s8                                      // 00000001CF20: 8008084B
	s_addc_u32 s9, 0, s9                                       // 00000001CF24: 82090980
	v_mul_f32_e32 v224, v51, v224                              // 00000001CF28: 0BC1C133
	v_mul_f32_e32 v225, v51, v225                              // 00000001CF2C: 0BC3C333
	v_mul_f32_e32 v226, v51, v226                              // 00000001CF30: 0BC5C533
	v_mul_f32_e32 v227, v51, v227                              // 00000001CF34: 0BC7C733
	v_mul_f32_e32 v228, v51, v228                              // 00000001CF38: 0BC9C933
	v_mul_f32_e32 v229, v51, v229                              // 00000001CF3C: 0BCBCB33
	v_mul_f32_e32 v230, v51, v230                              // 00000001CF40: 0BCDCD33
	v_mul_f32_e32 v231, v51, v231                              // 00000001CF44: 0BCFCF33
	v_mul_f32_e32 v192, v46, v192                              // 00000001CF48: 0B81812E
	v_mul_f32_e32 v193, v46, v193                              // 00000001CF4C: 0B83832E
	v_mul_f32_e32 v194, v46, v194                              // 00000001CF50: 0B85852E
	v_mul_f32_e32 v195, v46, v195                              // 00000001CF54: 0B87872E
	v_mul_f32_e32 v196, v46, v196                              // 00000001CF58: 0B89892E
	v_mul_f32_e32 v197, v46, v197                              // 00000001CF5C: 0B8B8B2E
	v_mul_f32_e32 v198, v46, v198                              // 00000001CF60: 0B8D8D2E
	v_mul_f32_e32 v199, v46, v199                              // 00000001CF64: 0B8F8F2E
	v_add_f32_e32 v224, v224, v192                             // 00000001CF68: 03C181E0
	v_add_f32_e32 v225, v225, v193                             // 00000001CF6C: 03C383E1
	v_add_f32_e32 v226, v226, v194                             // 00000001CF70: 03C585E2
	v_add_f32_e32 v227, v227, v195                             // 00000001CF74: 03C787E3
	v_add_f32_e32 v228, v228, v196                             // 00000001CF78: 03C989E4
	v_add_f32_e32 v229, v229, v197                             // 00000001CF7C: 03CB8BE5
	v_add_f32_e32 v230, v230, v198                             // 00000001CF80: 03CD8DE6
	v_add_f32_e32 v231, v231, v199                             // 00000001CF84: 03CF8FE7
	ds_write_b32 v8, v40 offset:16896                          // 00000001CF88: D81A4200 00002808
	s_waitcnt lgkmcnt(0)                                       // 00000001CF90: BF8CC07F
	s_barrier                                                  // 00000001CF94: BF8A0000
	ds_read_b32 v64, v7 offset:16896                           // 00000001CF98: D86C4200 40000007
	ds_read_b32 v65, v7 offset:16960                           // 00000001CFA0: D86C4240 41000007
	ds_read_b32 v66, v7 offset:17024                           // 00000001CFA8: D86C4280 42000007
	ds_read_b32 v67, v7 offset:17088                           // 00000001CFB0: D86C42C0 43000007
	ds_read_b32 v68, v7 offset:17152                           // 00000001CFB8: D86C4300 44000007
	ds_read_b32 v69, v7 offset:17216                           // 00000001CFC0: D86C4340 45000007
	ds_read_b32 v70, v7 offset:17280                           // 00000001CFC8: D86C4380 46000007
	ds_read_b32 v71, v7 offset:17344                           // 00000001CFD0: D86C43C0 47000007
	ds_read_b32 v72, v7 offset:17408                           // 00000001CFD8: D86C4400 48000007
	ds_read_b32 v73, v7 offset:17472                           // 00000001CFE0: D86C4440 49000007
	ds_read_b32 v74, v7 offset:17536                           // 00000001CFE8: D86C4480 4A000007
	ds_read_b32 v75, v7 offset:17600                           // 00000001CFF0: D86C44C0 4B000007
	ds_read_b32 v76, v7 offset:17664                           // 00000001CFF8: D86C4500 4C000007
	ds_read_b32 v77, v7 offset:17728                           // 00000001D000: D86C4540 4D000007
	ds_read_b32 v78, v7 offset:17792                           // 00000001D008: D86C4580 4E000007
	ds_read_b32 v79, v7 offset:17856                           // 00000001D010: D86C45C0 4F000007
	s_waitcnt lgkmcnt(0)                                       // 00000001D018: BF8CC07F
	v_mov_b32_e32 v40, 0                                       // 00000001D01C: 7E500280
	v_add_f32_e32 v40, v64, v40                                // 00000001D020: 02505140
	v_add_f32_e32 v40, v65, v40                                // 00000001D024: 02505141
	v_add_f32_e32 v40, v66, v40                                // 00000001D028: 02505142
	v_add_f32_e32 v40, v67, v40                                // 00000001D02C: 02505143
	v_add_f32_e32 v40, v68, v40                                // 00000001D030: 02505144
	v_add_f32_e32 v40, v69, v40                                // 00000001D034: 02505145
	v_add_f32_e32 v40, v70, v40                                // 00000001D038: 02505146
	v_add_f32_e32 v40, v71, v40                                // 00000001D03C: 02505147
	v_add_f32_e32 v40, v72, v40                                // 00000001D040: 02505148
	v_add_f32_e32 v40, v73, v40                                // 00000001D044: 02505149
	v_add_f32_e32 v40, v74, v40                                // 00000001D048: 0250514A
	v_add_f32_e32 v40, v75, v40                                // 00000001D04C: 0250514B
	v_add_f32_e32 v40, v76, v40                                // 00000001D050: 0250514C
	v_add_f32_e32 v40, v77, v40                                // 00000001D054: 0250514D
	v_add_f32_e32 v40, v78, v40                                // 00000001D058: 0250514E
	v_add_f32_e32 v40, v79, v40                                // 00000001D05C: 0250514F
	s_nop 1                                                    // 00000001D060: BF800001
	v_rcp_f32_e32 v40, v40                                     // 00000001D064: 7E504528
	s_nop 1                                                    // 00000001D068: BF800001
	v_mul_f32_e32 v224, v40, v224                              // 00000001D06C: 0BC1C128
	v_mul_f32_e32 v225, v40, v225                              // 00000001D070: 0BC3C328
	v_mul_f32_e32 v226, v40, v226                              // 00000001D074: 0BC5C528
	v_mul_f32_e32 v227, v40, v227                              // 00000001D078: 0BC7C728
	v_mul_f32_e32 v228, v40, v228                              // 00000001D07C: 0BC9C928
	v_mul_f32_e32 v229, v40, v229                              // 00000001D080: 0BCBCB28
	v_mul_f32_e32 v230, v40, v230                              // 00000001D084: 0BCDCD28
	v_mul_f32_e32 v231, v40, v231                              // 00000001D088: 0BCFCF28
	v_mov_b32_e32 v19, 0xffff0000                              // 00000001D08C: 7E2602FF FFFF0000
	v_mov_b32_e32 v20, 0x7fff0000                              // 00000001D094: 7E2802FF 7FFF0000
	v_mov_b32_e32 v21, 0x7fff                                  // 00000001D09C: 7E2A02FF 00007FFF
	v_cmp_u_f32_e64 s[40:41], v224, v224                       // 00000001D0A4: D0480028 0003C1E0
	v_add3_u32 v18, v224, v21, 1                               // 00000001D0AC: D1FF0012 02062BE0
	v_cndmask_b32_e64 v64, v18, v20, s[40:41]                  // 00000001D0B4: D1000040 00A22912
	v_cmp_u_f32_e64 s[40:41], v225, v225                       // 00000001D0BC: D0480028 0003C3E1
	v_add3_u32 v18, v225, v21, 1                               // 00000001D0C4: D1FF0012 02062BE1
	v_cndmask_b32_e64 v65, v18, v20, s[40:41]                  // 00000001D0CC: D1000041 00A22912
	v_perm_b32 v224, v65, v64, s52                             // 00000001D0D4: D1ED00E0 00D28141
	v_cmp_u_f32_e64 s[40:41], v226, v226                       // 00000001D0DC: D0480028 0003C5E2
	v_add3_u32 v18, v226, v21, 1                               // 00000001D0E4: D1FF0012 02062BE2
	v_cndmask_b32_e64 v64, v18, v20, s[40:41]                  // 00000001D0EC: D1000040 00A22912
	v_cmp_u_f32_e64 s[40:41], v227, v227                       // 00000001D0F4: D0480028 0003C7E3
	v_add3_u32 v18, v227, v21, 1                               // 00000001D0FC: D1FF0012 02062BE3
	v_cndmask_b32_e64 v65, v18, v20, s[40:41]                  // 00000001D104: D1000041 00A22912
	v_perm_b32 v225, v65, v64, s52                             // 00000001D10C: D1ED00E1 00D28141
	v_cmp_u_f32_e64 s[40:41], v228, v228                       // 00000001D114: D0480028 0003C9E4
	v_add3_u32 v18, v228, v21, 1                               // 00000001D11C: D1FF0012 02062BE4
	v_cndmask_b32_e64 v64, v18, v20, s[40:41]                  // 00000001D124: D1000040 00A22912
	v_cmp_u_f32_e64 s[40:41], v229, v229                       // 00000001D12C: D0480028 0003CBE5
	v_add3_u32 v18, v229, v21, 1                               // 00000001D134: D1FF0012 02062BE5
	v_cndmask_b32_e64 v65, v18, v20, s[40:41]                  // 00000001D13C: D1000041 00A22912
	v_perm_b32 v226, v65, v64, s52                             // 00000001D144: D1ED00E2 00D28141
	v_cmp_u_f32_e64 s[40:41], v230, v230                       // 00000001D14C: D0480028 0003CDE6
	v_add3_u32 v18, v230, v21, 1                               // 00000001D154: D1FF0012 02062BE6
	v_cndmask_b32_e64 v64, v18, v20, s[40:41]                  // 00000001D15C: D1000040 00A22912
	v_cmp_u_f32_e64 s[40:41], v231, v231                       // 00000001D164: D0480028 0003CFE7
	v_add3_u32 v18, v231, v21, 1                               // 00000001D16C: D1FF0012 02062BE7
	v_cndmask_b32_e64 v65, v18, v20, s[40:41]                  // 00000001D174: D1000041 00A22912
	v_perm_b32 v227, v65, v64, s52                             // 00000001D17C: D1ED00E3 00D28141
	s_nop 1                                                    // 00000001D184: BF800001
	v_lshrrev_b32_e32 v64, 4, v0                               // 00000001D188: 20800084
	v_mul_i32_i24_e32 v68, 34, v64                             // 00000001D18C: 0C8880A2
	v_and_b32_e32 v64, 15, v0                                  // 00000001D190: 2680008F
	v_mul_i32_i24_e32 v65, 2, v64                              // 00000001D194: 0C828082
	v_add_u32_e32 v68, v65, v68                                // 00000001D198: 68888941
	s_mul_i32 s60, s7, 0x88                                    // 00000001D19C: 923CFF07 00000088
	v_add_u32_e32 v68, s60, v68                                // 00000001D1A4: 6888883C
	v_lshlrev_b32_e32 v68, 2, v68                              // 00000001D1A8: 24888882
	ds_write_b64 v68, v[224:225] offset:41472                  // 00000001D1AC: D89AA200 0000E044
	ds_write_b64 v68, v[226:227] offset:43648                  // 00000001D1B4: D89AAA80 0000E244
	v_lshrrev_b32_e32 v64, 1, v0                               // 00000001D1BC: 20800081
	v_mul_i32_i24_e32 v68, 34, v64                             // 00000001D1C0: 0C8880A2
	v_and_b32_e32 v65, 1, v0                                   // 00000001D1C4: 26820081
	v_add_u32_e32 v68, v65, v68                                // 00000001D1C8: 68888941
	s_mul_i32 s60, s7, 2                                       // 00000001D1CC: 923C8207
	v_add_u32_e32 v68, s60, v68                                // 00000001D1D0: 6888883C
	v_lshlrev_b32_e32 v68, 2, v68                              // 00000001D1D4: 24888882
	s_waitcnt lgkmcnt(0)                                       // 00000001D1D8: BF8CC07F
	s_barrier                                                  // 00000001D1DC: BF8A0000
	ds_read_b32 v224, v68 offset:41472                         // 00000001D1E0: D86CA200 E0000044
	ds_read_b32 v225, v68 offset:41504                         // 00000001D1E8: D86CA220 E1000044
	ds_read_b32 v226, v68 offset:41536                         // 00000001D1F0: D86CA240 E2000044
	ds_read_b32 v227, v68 offset:41568                         // 00000001D1F8: D86CA260 E3000044
	s_mul_i32 s60, s7, 0x100                                   // 00000001D200: 923CFF07 00000100
	v_lshlrev_b32_e32 v64, 2, v0                               // 00000001D208: 24800082
	v_add_u32_e64 v64, v64, s60                                // 00000001D20C: D1340040 00007940
	s_waitcnt lgkmcnt(0)                                       // 00000001D214: BF8CC07F
	buffer_store_dword v224, v64, s[8:11], 0 offen             // 00000001D218: E0701000 8002E040
	buffer_store_dword v225, v64, s[8:11], 0 offen offset:1024 // 00000001D220: E0701400 8002E140
	buffer_store_dword v226, v64, s[8:11], 0 offen offset:2048 // 00000001D228: E0701800 8002E240
	buffer_store_dword v227, v64, s[8:11], 0 offen offset:3072 // 00000001D230: E0701C00 8002E340
	s_add_u32 s8, s75, s8                                      // 00000001D238: 8008084B
	s_addc_u32 s9, 0, s9                                       // 00000001D23C: 82090980

000000000001d240 <label_6C10>:
	s_branch label_B153                                        // 00000001D240: BF824542

000000000001d244 <label_6C11>:
	s_mul_i32 s60, s3, s65                                     // 00000001D244: 923C4103
	s_mul_i32 s60, s60, 4                                      // 00000001D248: 923C843C
	s_add_u32 s24, s60, s24                                    // 00000001D24C: 8018183C
	s_addc_u32 s25, 0, s25                                     // 00000001D250: 82191980
	s_mov_b32 s56, 64                                          // 00000001D254: BEB800C0
	s_add_u32 s73, s72, 15                                     // 00000001D258: 80498F48
	s_lshr_b32 s73, s73, 4                                     // 00000001D25C: 8F498449
	s_mul_i32 s60, s73, 4                                      // 00000001D260: 923C8449
	s_mov_b32 s26, s60                                         // 00000001D264: BE9A003C
	s_sub_u32 s89, s72, s86                                    // 00000001D268: 80D95648
	s_mov_b32 s90, 0xff                                        // 00000001D26C: BEDA00FF 000000FF
	s_mov_b32 s91, 0x100                                       // 00000001D274: BEDB00FF 00000100
	v_and_b32_e32 v65, 3, v0                                   // 00000001D27C: 26820083
	v_cmp_eq_u32_e64 s[60:61], 0, v65                          // 00000001D280: D0CA003C 00028280
	v_and_b32_e32 v64, 12, v0                                  // 00000001D288: 2680008C
	v_add_u32_e32 v1, s7, v64                                  // 00000001D28C: 68028007
	v_cndmask_b32_e64 v1, 0, v1, s[60:61]                      // 00000001D290: D1000001 00F20280
	v_and_b32_e32 v65, 3, v0                                   // 00000001D298: 26820083
	v_cmp_eq_u32_e64 s[60:61], 1, v65                          // 00000001D29C: D0CA003C 00028281
	v_lshrrev_b32_e32 v64, 4, v0                               // 00000001D2A4: 20800084
	v_and_b32_e32 v65, 12, v0                                  // 00000001D2A8: 2682008C
	v_add_u32_e32 v64, v65, v64                                // 00000001D2AC: 68808141
	v_cndmask_b32_e64 v64, 0, v64, s[60:61]                    // 00000001D2B0: D1000040 00F28080
	v_add_u32_e32 v1, v1, v64                                  // 00000001D2B8: 68028101
	v_lshlrev_b32_e32 v1, 2, v1                                // 00000001D2BC: 24020282
	buffer_load_dword v16, v1, s[24:27], 0 offen               // 00000001D2C0: E0501000 80061001
	v_add_u32_e32 v1, s56, v1                                  // 00000001D2C8: 68020238
	buffer_load_dword v17, v1, s[24:27], 0 offen               // 00000001D2CC: E0501000 80061101
	s_cmp_le_u32 s73, 32                                       // 00000001D2D4: BF0BA049
	s_cselect_b32 s56, 0, s56                                  // 00000001D2D8: 85383880
	s_mul_i32 s60, s2, s67                                     // 00000001D2DC: 923C4302
	s_mul_i32 s61, s84, s74                                    // 00000001D2E0: 923D4A54
	s_add_u32 s60, s60, s61                                    // 00000001D2E4: 803C3D3C
	s_add_u32 s12, s60, s12                                    // 00000001D2E8: 800C0C3C
	s_addc_u32 s13, 0, s13                                     // 00000001D2EC: 820D0D80
	s_mul_i32 s60, s7, 0x108                                   // 00000001D2F0: 923CFF07 00000108
	s_add_u32 m0, 0, s60                                       // 00000001D2F8: 807C3C80
	s_mul_i32 s60, s7, 0x100                                   // 00000001D2FC: 923CFF07 00000100
	v_lshlrev_b32_e32 v64, 2, v0                               // 00000001D304: 24800082
	v_add_u32_e64 v64, v64, s60                                // 00000001D308: D1340040 00007940
	v_add_u32_e32 v65, 0x400, v64                              // 00000001D310: 688280FF 00000400
	v_add_u32_e32 v66, 0x800, v64                              // 00000001D318: 688480FF 00000800
	v_add_u32_e32 v67, 0xc00, v64                              // 00000001D320: 688680FF 00000C00
	buffer_load_dword v64, s[12:15], 0 offen lds               // 00000001D328: E0511000 80030040
	s_mul_i32 s60, 4, 0x108                                    // 00000001D330: 923CFF84 00000108
	s_add_u32 m0, m0, s60                                      // 00000001D338: 807C3C7C
	buffer_load_dword v65, s[12:15], 0 offen lds               // 00000001D33C: E0511000 80030041
	s_mul_i32 s60, 4, 0x108                                    // 00000001D344: 923CFF84 00000108
	s_add_u32 m0, m0, s60                                      // 00000001D34C: 807C3C7C
	buffer_load_dword v66, s[12:15], 0 offen lds               // 00000001D350: E0511000 80030042
	s_mul_i32 s60, 4, 0x108                                    // 00000001D358: 923CFF84 00000108
	s_add_u32 m0, m0, s60                                      // 00000001D360: 807C3C7C
	buffer_load_dword v67, s[12:15], 0 offen lds               // 00000001D364: E0511000 80030043
	s_mul_i32 s60, 4, 0x108                                    // 00000001D36C: 923CFF84 00000108
	s_add_u32 m0, m0, s60                                      // 00000001D374: 807C3C7C
	s_add_u32 s12, s74, s12                                    // 00000001D378: 800C0C4A
	s_addc_u32 s13, 0, s13                                     // 00000001D37C: 820D0D80
	buffer_load_dword v64, s[12:15], 0 offen lds               // 00000001D380: E0511000 80030040
	s_mul_i32 s60, 4, 0x108                                    // 00000001D388: 923CFF84 00000108
	s_add_u32 m0, m0, s60                                      // 00000001D390: 807C3C7C
	buffer_load_dword v65, s[12:15], 0 offen lds               // 00000001D394: E0511000 80030041
	s_mul_i32 s60, 4, 0x108                                    // 00000001D39C: 923CFF84 00000108
	s_add_u32 m0, m0, s60                                      // 00000001D3A4: 807C3C7C
	buffer_load_dword v66, s[12:15], 0 offen lds               // 00000001D3A8: E0511000 80030042
	s_mul_i32 s60, 4, 0x108                                    // 00000001D3B0: 923CFF84 00000108
	s_add_u32 m0, m0, s60                                      // 00000001D3B8: 807C3C7C
	buffer_load_dword v67, s[12:15], 0 offen lds               // 00000001D3BC: E0511000 80030043
	s_mul_i32 s60, 4, 0x108                                    // 00000001D3C4: 923CFF84 00000108
	s_add_u32 m0, m0, s60                                      // 00000001D3CC: 807C3C7C
	s_add_u32 s12, s74, s12                                    // 00000001D3D0: 800C0C4A
	s_addc_u32 s13, 0, s13                                     // 00000001D3D4: 820D0D80
	buffer_load_dword v64, s[12:15], 0 offen lds               // 00000001D3D8: E0511000 80030040
	s_mul_i32 s60, 4, 0x108                                    // 00000001D3E0: 923CFF84 00000108
	s_add_u32 m0, m0, s60                                      // 00000001D3E8: 807C3C7C
	buffer_load_dword v65, s[12:15], 0 offen lds               // 00000001D3EC: E0511000 80030041
	s_mul_i32 s60, 4, 0x108                                    // 00000001D3F4: 923CFF84 00000108
	s_add_u32 m0, m0, s60                                      // 00000001D3FC: 807C3C7C
	buffer_load_dword v66, s[12:15], 0 offen lds               // 00000001D400: E0511000 80030042
	s_mul_i32 s60, 4, 0x108                                    // 00000001D408: 923CFF84 00000108
	s_add_u32 m0, m0, s60                                      // 00000001D410: 807C3C7C
	buffer_load_dword v67, s[12:15], 0 offen lds               // 00000001D414: E0511000 80030043
	s_mul_i32 s60, 4, 0x108                                    // 00000001D41C: 923CFF84 00000108
	s_add_u32 m0, m0, s60                                      // 00000001D424: 807C3C7C
	s_add_u32 s12, s74, s12                                    // 00000001D428: 800C0C4A
	s_addc_u32 s13, 0, s13                                     // 00000001D42C: 820D0D80
	buffer_load_dword v64, s[12:15], 0 offen lds               // 00000001D430: E0511000 80030040
	s_mul_i32 s60, 4, 0x108                                    // 00000001D438: 923CFF84 00000108
	s_add_u32 m0, m0, s60                                      // 00000001D440: 807C3C7C
	buffer_load_dword v65, s[12:15], 0 offen lds               // 00000001D444: E0511000 80030041
	s_mul_i32 s60, 4, 0x108                                    // 00000001D44C: 923CFF84 00000108
	s_add_u32 m0, m0, s60                                      // 00000001D454: 807C3C7C
	buffer_load_dword v66, s[12:15], 0 offen lds               // 00000001D458: E0511000 80030042
	s_mul_i32 s60, 4, 0x108                                    // 00000001D460: 923CFF84 00000108
	s_add_u32 m0, m0, s60                                      // 00000001D468: 807C3C7C
	buffer_load_dword v67, s[12:15], 0 offen lds               // 00000001D46C: E0511000 80030043
	s_mul_i32 s60, 4, 0x108                                    // 00000001D474: 923CFF84 00000108
	s_add_u32 m0, m0, s60                                      // 00000001D47C: 807C3C7C
	s_add_u32 s12, s74, s12                                    // 00000001D480: 800C0C4A
	s_addc_u32 s13, 0, s13                                     // 00000001D484: 820D0D80
	v_lshrrev_b32_e32 v64, 4, v0                               // 00000001D488: 20800084
	v_lshlrev_b32_e32 v64, 2, v64                              // 00000001D48C: 24808082
	v_and_b32_e32 v65, 3, v0                                   // 00000001D490: 26820083
	v_add_u32_e32 v64, v65, v64                                // 00000001D494: 68808141
	v_lshlrev_b32_e32 v59, 2, v64                              // 00000001D498: 24768082
	v_mov_b32_e32 v60, v59                                     // 00000001D49C: 7E78033B
	s_mul_i32 s60, s2, 64                                      // 00000001D4A0: 923CC002
	s_add_u32 s32, s60, s32                                    // 00000001D4A4: 8020203C
	s_addc_u32 s33, 0, s33                                     // 00000001D4A8: 82212180
	s_add_u32 s36, s60, s36                                    // 00000001D4AC: 8024243C
	s_addc_u32 s37, 0, s37                                     // 00000001D4B0: 82252580
	s_mul_i32 s60, s2, s76                                     // 00000001D4B4: 923C4C02
	s_mul_i32 s61, s84, s75                                    // 00000001D4B8: 923D4B54
	s_add_u32 s60, s60, s61                                    // 00000001D4BC: 803C3D3C
	s_add_u32 s8, s60, s8                                      // 00000001D4C0: 8008083C
	s_addc_u32 s9, 0, s9                                       // 00000001D4C4: 82090980
	s_mov_b32 s70, 0                                           // 00000001D4C8: BEC60080
	s_and_b32 s71, s72, 0xffffff00                             // 00000001D4CC: 8647FF48 FFFFFF00
	s_mov_b32 s42, 0xff00ff00                                  // 00000001D4D4: BEAA00FF FF00FF00
	s_mov_b32 s43, 0xff00ff00                                  // 00000001D4DC: BEAB00FF FF00FF00
	s_mov_b32 s44, 0xf0f0f0f0                                  // 00000001D4E4: BEAC00FF F0F0F0F0
	s_mov_b32 s45, 0xf0f0f0f0                                  // 00000001D4EC: BEAD00FF F0F0F0F0
	s_mov_b32 s78, 0xff00ff                                    // 00000001D4F4: BECE00FF 00FF00FF
	s_mov_b32 s79, 0xff00ff                                    // 00000001D4FC: BECF00FF 00FF00FF
	v_mul_i32_i24_e64 v63, 64, s66                             // 00000001D504: D106003F 000084C0
	v_mov_b32_e32 v54, s68                                     // 00000001D50C: 7E6C0244
	s_mov_b32 s52, 0x7060302                                   // 00000001D510: BEB400FF 07060302
	s_mov_b32 s53, 0x400                                       // 00000001D518: BEB500FF 00000400
	s_mov_b32 s54, 0x40100                                     // 00000001D520: BEB600FF 00040100
	s_mov_b32 s55, 0x4020100                                   // 00000001D528: BEB700FF 04020100
	s_mov_b32 s6, 0x3fb8aa3b                                   // 00000001D530: BE8600FF 3FB8AA3B
	v_mov_b32_e32 v11, 0xff800000                              // 00000001D538: 7E1602FF FF800000
	v_mov_b32_e32 v12, 0xff800000                              // 00000001D540: 7E1802FF FF800000
	v_mov_b32_e32 v49, 0                                       // 00000001D548: 7E620280
	v_mov_b32_e32 v50, 0                                       // 00000001D54C: 7E640280
	v_mov_b32_e32 v51, 0                                       // 00000001D550: 7E660280
	v_mov_b32_e32 v52, 0                                       // 00000001D554: 7E680280
	v_mov_b32_e32 v38, 0                                       // 00000001D558: 7E4C0280
	v_mov_b32_e32 v39, 0                                       // 00000001D55C: 7E4E0280
	v_mov_b32_e32 v40, 0                                       // 00000001D560: 7E500280
	v_mov_b32_e32 v41, 0                                       // 00000001D564: 7E520280
	v_mov_b32_e32 v44, 0                                       // 00000001D568: 7E580280
	v_mov_b32_e32 v45, 0                                       // 00000001D56C: 7E5A0280
	v_mov_b32_e32 v46, 0                                       // 00000001D570: 7E5C0280
	v_mov_b32_e32 v47, 0                                       // 00000001D574: 7E5E0280
	v_add_u32_e32 v1, s56, v1                                  // 00000001D578: 68020238
	v_and_b32_e32 v7, 15, v0                                   // 00000001D57C: 260E008F
	v_lshlrev_b32_e32 v7, 2, v7                                // 00000001D580: 240E0E82
	v_lshlrev_b32_e32 v8, 2, v0                                // 00000001D584: 24100082
	s_mul_i32 s60, 0x100, s7                                   // 00000001D588: 923C07FF 00000100
	v_add_u32_e32 v8, s60, v8                                  // 00000001D590: 6810103C
	v_lshrrev_b32_e32 v64, 4, v0                               // 00000001D594: 20800084
	v_lshlrev_b32_e32 v65, 6, v64                              // 00000001D598: 24828086
	v_and_b32_e32 v64, 15, v0                                  // 00000001D59C: 2680008F
	v_lshlrev_b32_e32 v64, 1, v64                              // 00000001D5A0: 24808081
	v_add_u32_e32 v65, v64, v65                                // 00000001D5A4: 68828340
	v_lshlrev_b32_e32 v9, 2, v65                               // 00000001D5A8: 24128282
	v_lshrrev_b32_e32 v64, 5, v0                               // 00000001D5AC: 20800085
	v_lshlrev_b32_e32 v65, 5, v64                              // 00000001D5B0: 24828085
	v_and_b32_e32 v64, 31, v0                                  // 00000001D5B4: 2680009F
	v_lshrrev_b32_e32 v66, 4, v64                              // 00000001D5B8: 20848084
	v_add_u32_e32 v65, v66, v65                                // 00000001D5BC: 68828342
	v_and_b32_e32 v64, 15, v0                                  // 00000001D5C0: 2680008F
	v_lshlrev_b32_e32 v64, 1, v64                              // 00000001D5C4: 24808081
	v_add_u32_e32 v65, v64, v65                                // 00000001D5C8: 68828340
	v_lshlrev_b32_e32 v64, 2, v65                              // 00000001D5CC: 24808282
	s_mul_i32 s60, 0x100, s7                                   // 00000001D5D0: 923C07FF 00000100
	v_add_u32_e64 v10, v64, s60                                // 00000001D5D8: D134000A 00007940
	v_lshlrev_b32_e32 v5, 4, v0                                // 00000001D5E0: 240A0084
	s_mul_i32 s60, s2, s69                                     // 00000001D5E4: 923C4502
	s_add_u32 s16, s60, s16                                    // 00000001D5E8: 8010103C
	s_addc_u32 s17, 0, s17                                     // 00000001D5EC: 82111180
	v_and_b32_e32 v64, 15, v0                                  // 00000001D5F0: 2680008F
	v_lshlrev_b32_e32 v6, 4, v64                               // 00000001D5F4: 240C8084
	s_mul_i32 s61, s2, s69                                     // 00000001D5F8: 923D4502
	s_mul_i32 s60, s7, 0x100                                   // 00000001D5FC: 923CFF07 00000100
	s_add_u32 s60, s60, s61                                    // 00000001D604: 803C3D3C
	s_add_u32 s20, s60, s20                                    // 00000001D608: 8014143C
	s_addc_u32 s21, 0, s21                                     // 00000001D60C: 82151580
	s_waitcnt vmcnt(4)                                         // 00000001D610: BF8C0F74
	v_mul_u32_u24_dpp v64, v16, v54 row_newbcast:0 row_mask:0xf bank_mask:0xf// 00000001D614: 10806CFA FF015010
	v_mul_u32_u24_dpp v65, v16, v54 row_newbcast:4 row_mask:0xf bank_mask:0xf// 00000001D61C: 10826CFA FF015410
	v_mul_u32_u24_dpp v66, v16, v54 row_newbcast:8 row_mask:0xf bank_mask:0xf// 00000001D624: 10846CFA FF015810
	v_mul_u32_u24_dpp v67, v16, v54 row_newbcast:12 row_mask:0xf bank_mask:0xf// 00000001D62C: 10866CFA FF015C10
	v_add_u32_e32 v22, v64, v5                                 // 00000001D634: 682C0B40
	v_add_u32_e32 v23, v65, v5                                 // 00000001D638: 682E0B41
	v_add_u32_e32 v24, v66, v5                                 // 00000001D63C: 68300B42
	v_add_u32_e32 v25, v67, v5                                 // 00000001D640: 68320B43
	v_mul_u32_u24_dpp v64, v16, v54 row_newbcast:1 row_mask:0xf bank_mask:0xf// 00000001D644: 10806CFA FF015110
	v_mul_u32_u24_dpp v65, v16, v54 row_newbcast:5 row_mask:0xf bank_mask:0xf// 00000001D64C: 10826CFA FF015510
	v_mul_u32_u24_dpp v66, v16, v54 row_newbcast:9 row_mask:0xf bank_mask:0xf// 00000001D654: 10846CFA FF015910
	v_mul_u32_u24_dpp v67, v16, v54 row_newbcast:13 row_mask:0xf bank_mask:0xf// 00000001D65C: 10866CFA FF015D10
	v_add_u32_e32 v30, v64, v6                                 // 00000001D664: 683C0D40
	v_add_u32_e32 v31, v65, v6                                 // 00000001D668: 683E0D41
	v_add_u32_e32 v32, v66, v6                                 // 00000001D66C: 68400D42
	v_add_u32_e32 v33, v67, v6                                 // 00000001D670: 68420D43
	v_mul_u32_u24_dpp v64, v16, v63 quad_perm:[0,0,0,0] row_mask:0xf bank_mask:0xf// 00000001D674: 10807EFA FF000010
	v_add_u32_e32 v2, v64, v59                                 // 00000001D67C: 68047740
	v_mul_u32_u24_dpp v64, v16, v63 quad_perm:[0,0,0,0] row_mask:0xf bank_mask:0xf// 00000001D680: 10807EFA FF000010
	v_add_u32_e32 v55, v64, v60                                // 00000001D688: 686E7940
	buffer_load_dword v42, v2, s[32:35], 0 offen               // 00000001D68C: E0501000 80082A02
	buffer_load_dwordx4 a[0:3], v22, s[16:19], 0 offen         // 00000001D694: E05C1000 80840016
	buffer_load_dwordx4 a[4:7], v22, s[16:19], 0 offen offset:1024// 00000001D69C: E05C1400 80840416
	buffer_load_dwordx4 a[8:11], v23, s[16:19], 0 offen        // 00000001D6A4: E05C1000 80840817
	buffer_load_dwordx4 a[12:15], v23, s[16:19], 0 offen offset:1024// 00000001D6AC: E05C1400 80840C17
	buffer_load_dwordx4 a[16:19], v24, s[16:19], 0 offen       // 00000001D6B4: E05C1000 80841018
	buffer_load_dwordx4 a[20:23], v24, s[16:19], 0 offen offset:1024// 00000001D6BC: E05C1400 80841418
	buffer_load_dwordx4 a[24:27], v25, s[16:19], 0 offen       // 00000001D6C4: E05C1000 80841819
	buffer_load_dwordx4 a[28:31], v25, s[16:19], 0 offen offset:1024// 00000001D6CC: E05C1400 80841C19
	buffer_load_dword v57, v55, s[36:39], 0 offen              // 00000001D6D4: E0501000 80093937
	buffer_load_dwordx4 a[64:67], v30, s[20:23], 0 offen       // 00000001D6DC: E05C1000 8085401E
	buffer_load_dwordx4 a[68:71], v31, s[20:23], 0 offen       // 00000001D6E4: E05C1000 8085441F
	buffer_load_dwordx4 a[72:75], v32, s[20:23], 0 offen       // 00000001D6EC: E05C1000 80854820
	buffer_load_dwordx4 a[76:79], v33, s[20:23], 0 offen       // 00000001D6F4: E05C1000 80854C21
	buffer_load_dwordx4 a[80:83], v30, s[20:23], 0 offen offset:1024// 00000001D6FC: E05C1400 8085501E
	buffer_load_dwordx4 a[84:87], v31, s[20:23], 0 offen offset:1024// 00000001D704: E05C1400 8085541F
	buffer_load_dwordx4 a[88:91], v32, s[20:23], 0 offen offset:1024// 00000001D70C: E05C1400 80855820
	buffer_load_dwordx4 a[92:95], v33, s[20:23], 0 offen offset:1024// 00000001D714: E05C1400 80855C21
	v_lshrrev_b32_e32 v64, 4, v0                               // 00000001D71C: 20800084
	v_lshlrev_b32_e32 v65, 1, v64                              // 00000001D720: 24828081
	v_and_b32_e32 v64, 15, v0                                  // 00000001D724: 2680008F
	v_mul_i32_i24_e32 v64, 0x42, v64                           // 00000001D728: 0C8080FF 00000042
	v_add_u32_e32 v65, v64, v65                                // 00000001D730: 68828340
	v_lshlrev_b32_e32 v4, 2, v65                               // 00000001D734: 24088282
	s_mul_i32 s60, s7, 32                                      // 00000001D738: 923CA007
	v_add_u32_e32 v4, s60, v4                                  // 00000001D73C: 6808083C
	s_waitcnt vmcnt(16) lgkmcnt(0)                             // 00000001D740: BF8C4070
	s_barrier                                                  // 00000001D744: BF8A0000
	ds_read_b64 v[80:81], v4                                   // 00000001D748: D8EC0000 50000004
	ds_read_b64 v[84:85], v4 offset:128                        // 00000001D750: D8EC0080 54000004
	s_waitcnt lgkmcnt(0)                                       // 00000001D758: BF8CC07F
	v_and_b32_e32 v83, 0xffff0000, v81                         // 00000001D75C: 26A6A2FF FFFF0000
	v_lshlrev_b32_e32 v82, 16, v81                             // 00000001D764: 24A4A290
	v_and_b32_e32 v81, 0xffff0000, v80                         // 00000001D768: 26A2A0FF FFFF0000
	v_lshlrev_b32_e32 v80, 16, v80                             // 00000001D770: 24A0A090
	v_and_b32_e32 v87, 0xffff0000, v85                         // 00000001D774: 26AEAAFF FFFF0000
	v_lshlrev_b32_e32 v86, 16, v85                             // 00000001D77C: 24ACAA90
	v_and_b32_e32 v85, 0xffff0000, v84                         // 00000001D780: 26AAA8FF FFFF0000
	v_lshlrev_b32_e32 v84, 16, v84                             // 00000001D788: 24A8A890
	v_mov_b32_e32 v48, 0x358637bd                              // 00000001D78C: 7E6002FF 358637BD
	v_max3_f32 v48, |v80|, |v81|, v48                          // 00000001D794: D1D30330 04C2A350
	v_max3_f32 v48, |v82|, |v83|, v48                          // 00000001D79C: D1D30330 04C2A752
	v_max3_f32 v48, |v84|, |v85|, v48                          // 00000001D7A4: D1D30330 04C2AB54
	v_max3_f32 v48, |v86|, |v87|, v48                          // 00000001D7AC: D1D30330 04C2AF56
	ds_write_b32 v8, v48 offset:16896                          // 00000001D7B4: D81A4200 00003008
	s_waitcnt lgkmcnt(0)                                       // 00000001D7BC: BF8CC07F
	s_barrier                                                  // 00000001D7C0: BF8A0000
	ds_read_b32 v64, v7 offset:16896                           // 00000001D7C4: D86C4200 40000007
	ds_read_b32 v65, v7 offset:16960                           // 00000001D7CC: D86C4240 41000007
	ds_read_b32 v66, v7 offset:17024                           // 00000001D7D4: D86C4280 42000007
	ds_read_b32 v67, v7 offset:17088                           // 00000001D7DC: D86C42C0 43000007
	ds_read_b32 v68, v7 offset:17152                           // 00000001D7E4: D86C4300 44000007
	ds_read_b32 v69, v7 offset:17216                           // 00000001D7EC: D86C4340 45000007
	ds_read_b32 v70, v7 offset:17280                           // 00000001D7F4: D86C4380 46000007
	ds_read_b32 v71, v7 offset:17344                           // 00000001D7FC: D86C43C0 47000007
	ds_read_b32 v72, v7 offset:17408                           // 00000001D804: D86C4400 48000007
	ds_read_b32 v73, v7 offset:17472                           // 00000001D80C: D86C4440 49000007
	ds_read_b32 v74, v7 offset:17536                           // 00000001D814: D86C4480 4A000007
	ds_read_b32 v75, v7 offset:17600                           // 00000001D81C: D86C44C0 4B000007
	ds_read_b32 v76, v7 offset:17664                           // 00000001D824: D86C4500 4C000007
	ds_read_b32 v77, v7 offset:17728                           // 00000001D82C: D86C4540 4D000007
	ds_read_b32 v78, v7 offset:17792                           // 00000001D834: D86C4580 4E000007
	ds_read_b32 v79, v7 offset:17856                           // 00000001D83C: D86C45C0 4F000007
	s_waitcnt lgkmcnt(0)                                       // 00000001D844: BF8CC07F
	v_max3_f32 v48, |v64|, |v65|, v48                          // 00000001D848: D1D30330 04C28340
	v_max3_f32 v48, |v66|, |v67|, v48                          // 00000001D850: D1D30330 04C28742
	v_max3_f32 v48, |v68|, |v69|, v48                          // 00000001D858: D1D30330 04C28B44
	v_max3_f32 v48, |v70|, |v71|, v48                          // 00000001D860: D1D30330 04C28F46
	v_max3_f32 v48, |v72|, |v73|, v48                          // 00000001D868: D1D30330 04C29348
	v_max3_f32 v48, |v74|, |v75|, v48                          // 00000001D870: D1D30330 04C2974A
	v_max3_f32 v48, |v76|, |v77|, v48                          // 00000001D878: D1D30330 04C29B4C
	v_max3_f32 v48, |v78|, |v79|, v48                          // 00000001D880: D1D30330 04C29F4E
	v_rcp_f32_e32 v48, v48                                     // 00000001D888: 7E604530
	s_nop 1                                                    // 00000001D88C: BF800001
	v_mul_f32_e32 v48, 0x43e00000, v48                         // 00000001D890: 0A6060FF 43E00000
	v_mul_f32_e32 v80, v48, v80                                // 00000001D898: 0AA0A130
	v_mul_f32_e32 v81, v48, v81                                // 00000001D89C: 0AA2A330
	v_mul_f32_e32 v82, v48, v82                                // 00000001D8A0: 0AA4A530
	v_mul_f32_e32 v83, v48, v83                                // 00000001D8A4: 0AA6A730
	v_mul_f32_e32 v84, v48, v84                                // 00000001D8A8: 0AA8A930
	v_mul_f32_e32 v85, v48, v85                                // 00000001D8AC: 0AAAAB30
	v_mul_f32_e32 v86, v48, v86                                // 00000001D8B0: 0AACAD30
	v_mul_f32_e32 v87, v48, v87                                // 00000001D8B4: 0AAEAF30
	v_rcp_f32_e32 v18, v48                                     // 00000001D8B8: 7E244530
	v_cvt_pk_fp8_f32 v80, v80, v81                             // 00000001D8BC: D2A20050 0002A350
	v_cvt_pk_fp8_f32 v80, v82, v83 op_sel:[0,0,1]              // 00000001D8C4: D2A24050 0002A752
	v_cvt_pk_fp8_f32 v81, v84, v85                             // 00000001D8CC: D2A20051 0002AB54
	v_cvt_pk_fp8_f32 v81, v86, v87 op_sel:[0,0,1]              // 00000001D8D4: D2A24051 0002AF56
	ds_write_b32 v10, v80 offset:25088                         // 00000001D8DC: D81A6200 0000500A
	ds_write_b32 v10, v81 offset:26112                         // 00000001D8E4: D81A6600 0000510A
	s_waitcnt lgkmcnt(0)                                       // 00000001D8EC: BF8CC07F
	s_barrier                                                  // 00000001D8F0: BF8A0000
	ds_read_b64 v[80:81], v9 offset:25088                      // 00000001D8F4: D8EC6200 50000009
	ds_read_b64 v[82:83], v9 offset:25216                      // 00000001D8FC: D8EC6280 52000009
	ds_read_b64 v[84:85], v9 offset:26112                      // 00000001D904: D8EC6600 54000009
	ds_read_b64 v[86:87], v9 offset:26240                      // 00000001D90C: D8EC6680 56000009
	v_mov_b32_e32 v208, 0                                      // 00000001D914: 7FA00280
	v_mov_b32_e32 v209, 0                                      // 00000001D918: 7FA20280
	v_mov_b32_e32 v210, 0                                      // 00000001D91C: 7FA40280
	v_mov_b32_e32 v211, 0                                      // 00000001D920: 7FA60280
	v_mov_b32_e32 v212, 0                                      // 00000001D924: 7FA80280
	v_mov_b32_e32 v213, 0                                      // 00000001D928: 7FAA0280
	v_mov_b32_e32 v214, 0                                      // 00000001D92C: 7FAC0280
	v_mov_b32_e32 v215, 0                                      // 00000001D930: 7FAE0280
	v_mov_b32_e32 v176, 0                                      // 00000001D934: 7F600280
	v_mov_b32_e32 v177, 0                                      // 00000001D938: 7F620280
	v_mov_b32_e32 v178, 0                                      // 00000001D93C: 7F640280
	v_mov_b32_e32 v179, 0                                      // 00000001D940: 7F660280
	v_mov_b32_e32 v180, 0                                      // 00000001D944: 7F680280
	v_mov_b32_e32 v181, 0                                      // 00000001D948: 7F6A0280
	v_mov_b32_e32 v182, 0                                      // 00000001D94C: 7F6C0280
	v_mov_b32_e32 v183, 0                                      // 00000001D950: 7F6E0280
	ds_read_b64 v[88:89], v4 offset:4224                       // 00000001D954: D8EC1080 58000004
	ds_read_b64 v[92:93], v4 offset:4352                       // 00000001D95C: D8EC1100 5C000004
	s_waitcnt lgkmcnt(0)                                       // 00000001D964: BF8CC07F
	v_and_b32_e32 v91, 0xffff0000, v89                         // 00000001D968: 26B6B2FF FFFF0000
	v_lshlrev_b32_e32 v90, 16, v89                             // 00000001D970: 24B4B290
	v_and_b32_e32 v89, 0xffff0000, v88                         // 00000001D974: 26B2B0FF FFFF0000
	v_lshlrev_b32_e32 v88, 16, v88                             // 00000001D97C: 24B0B090
	v_and_b32_e32 v95, 0xffff0000, v93                         // 00000001D980: 26BEBAFF FFFF0000
	v_lshlrev_b32_e32 v94, 16, v93                             // 00000001D988: 24BCBA90
	v_and_b32_e32 v93, 0xffff0000, v92                         // 00000001D98C: 26BAB8FF FFFF0000
	v_lshlrev_b32_e32 v92, 16, v92                             // 00000001D994: 24B8B890
	v_mov_b32_e32 v48, 0x358637bd                              // 00000001D998: 7E6002FF 358637BD
	v_max3_f32 v48, |v88|, |v89|, v48                          // 00000001D9A0: D1D30330 04C2B358
	v_max3_f32 v48, |v90|, |v91|, v48                          // 00000001D9A8: D1D30330 04C2B75A
	v_max3_f32 v48, |v92|, |v93|, v48                          // 00000001D9B0: D1D30330 04C2BB5C
	v_max3_f32 v48, |v94|, |v95|, v48                          // 00000001D9B8: D1D30330 04C2BF5E
	ds_write_b32 v8, v48 offset:16896                          // 00000001D9C0: D81A4200 00003008
	s_waitcnt lgkmcnt(0)                                       // 00000001D9C8: BF8CC07F
	s_barrier                                                  // 00000001D9CC: BF8A0000
	ds_read_b32 v64, v7 offset:16896                           // 00000001D9D0: D86C4200 40000007
	ds_read_b32 v65, v7 offset:16960                           // 00000001D9D8: D86C4240 41000007
	ds_read_b32 v66, v7 offset:17024                           // 00000001D9E0: D86C4280 42000007
	ds_read_b32 v67, v7 offset:17088                           // 00000001D9E8: D86C42C0 43000007
	ds_read_b32 v68, v7 offset:17152                           // 00000001D9F0: D86C4300 44000007
	ds_read_b32 v69, v7 offset:17216                           // 00000001D9F8: D86C4340 45000007
	ds_read_b32 v70, v7 offset:17280                           // 00000001DA00: D86C4380 46000007
	ds_read_b32 v71, v7 offset:17344                           // 00000001DA08: D86C43C0 47000007
	ds_read_b32 v72, v7 offset:17408                           // 00000001DA10: D86C4400 48000007
	ds_read_b32 v73, v7 offset:17472                           // 00000001DA18: D86C4440 49000007
	ds_read_b32 v74, v7 offset:17536                           // 00000001DA20: D86C4480 4A000007
	ds_read_b32 v75, v7 offset:17600                           // 00000001DA28: D86C44C0 4B000007
	ds_read_b32 v76, v7 offset:17664                           // 00000001DA30: D86C4500 4C000007
	ds_read_b32 v77, v7 offset:17728                           // 00000001DA38: D86C4540 4D000007
	ds_read_b32 v78, v7 offset:17792                           // 00000001DA40: D86C4580 4E000007
	ds_read_b32 v79, v7 offset:17856                           // 00000001DA48: D86C45C0 4F000007
	s_waitcnt lgkmcnt(0)                                       // 00000001DA50: BF8CC07F
	v_max3_f32 v48, |v64|, |v65|, v48                          // 00000001DA54: D1D30330 04C28340
	v_max3_f32 v48, |v66|, |v67|, v48                          // 00000001DA5C: D1D30330 04C28742
	v_max3_f32 v48, |v68|, |v69|, v48                          // 00000001DA64: D1D30330 04C28B44
	v_max3_f32 v48, |v70|, |v71|, v48                          // 00000001DA6C: D1D30330 04C28F46
	v_max3_f32 v48, |v72|, |v73|, v48                          // 00000001DA74: D1D30330 04C29348
	v_max3_f32 v48, |v74|, |v75|, v48                          // 00000001DA7C: D1D30330 04C2974A
	v_max3_f32 v48, |v76|, |v77|, v48                          // 00000001DA84: D1D30330 04C29B4C
	v_max3_f32 v48, |v78|, |v79|, v48                          // 00000001DA8C: D1D30330 04C29F4E
	v_rcp_f32_e32 v48, v48                                     // 00000001DA94: 7E604530
	s_nop 1                                                    // 00000001DA98: BF800001
	v_mul_f32_e32 v48, 0x43e00000, v48                         // 00000001DA9C: 0A6060FF 43E00000
	v_mul_f32_e32 v88, v48, v88                                // 00000001DAA4: 0AB0B130
	v_mul_f32_e32 v89, v48, v89                                // 00000001DAA8: 0AB2B330
	v_mul_f32_e32 v90, v48, v90                                // 00000001DAAC: 0AB4B530
	v_mul_f32_e32 v91, v48, v91                                // 00000001DAB0: 0AB6B730
	v_mul_f32_e32 v92, v48, v92                                // 00000001DAB4: 0AB8B930
	v_mul_f32_e32 v93, v48, v93                                // 00000001DAB8: 0ABABB30
	v_mul_f32_e32 v94, v48, v94                                // 00000001DABC: 0ABCBD30
	v_mul_f32_e32 v95, v48, v95                                // 00000001DAC0: 0ABEBF30
	v_rcp_f32_e32 v19, v48                                     // 00000001DAC4: 7E264530
	v_cvt_pk_fp8_f32 v88, v88, v89                             // 00000001DAC8: D2A20058 0002B358
	v_cvt_pk_fp8_f32 v88, v90, v91 op_sel:[0,0,1]              // 00000001DAD0: D2A24058 0002B75A
	v_cvt_pk_fp8_f32 v89, v92, v93                             // 00000001DAD8: D2A20059 0002BB5C
	v_cvt_pk_fp8_f32 v89, v94, v95 op_sel:[0,0,1]              // 00000001DAE0: D2A24059 0002BF5E
	ds_write_b32 v10, v88 offset:25088                         // 00000001DAE8: D81A6200 0000580A
	ds_write_b32 v10, v89 offset:26112                         // 00000001DAF0: D81A6600 0000590A
	s_waitcnt lgkmcnt(0)                                       // 00000001DAF8: BF8CC07F
	s_barrier                                                  // 00000001DAFC: BF8A0000
	ds_read_b64 v[88:89], v9 offset:25088                      // 00000001DB00: D8EC6200 58000009
	ds_read_b64 v[90:91], v9 offset:25216                      // 00000001DB08: D8EC6280 5A000009
	ds_read_b64 v[92:93], v9 offset:26112                      // 00000001DB10: D8EC6600 5C000009
	ds_read_b64 v[94:95], v9 offset:26240                      // 00000001DB18: D8EC6680 5E000009
	v_mov_b32_e32 v216, 0                                      // 00000001DB20: 7FB00280
	v_mov_b32_e32 v217, 0                                      // 00000001DB24: 7FB20280
	v_mov_b32_e32 v218, 0                                      // 00000001DB28: 7FB40280
	v_mov_b32_e32 v219, 0                                      // 00000001DB2C: 7FB60280
	v_mov_b32_e32 v220, 0                                      // 00000001DB30: 7FB80280
	v_mov_b32_e32 v221, 0                                      // 00000001DB34: 7FBA0280
	v_mov_b32_e32 v222, 0                                      // 00000001DB38: 7FBC0280
	v_mov_b32_e32 v223, 0                                      // 00000001DB3C: 7FBE0280
	v_mov_b32_e32 v184, 0                                      // 00000001DB40: 7F700280
	v_mov_b32_e32 v185, 0                                      // 00000001DB44: 7F720280
	v_mov_b32_e32 v186, 0                                      // 00000001DB48: 7F740280
	v_mov_b32_e32 v187, 0                                      // 00000001DB4C: 7F760280
	v_mov_b32_e32 v188, 0                                      // 00000001DB50: 7F780280
	v_mov_b32_e32 v189, 0                                      // 00000001DB54: 7F7A0280
	v_mov_b32_e32 v190, 0                                      // 00000001DB58: 7F7C0280
	v_mov_b32_e32 v191, 0                                      // 00000001DB5C: 7F7E0280
	ds_read_b64 v[96:97], v4 offset:8448                       // 00000001DB60: D8EC2100 60000004
	ds_read_b64 v[100:101], v4 offset:8576                     // 00000001DB68: D8EC2180 64000004
	s_waitcnt lgkmcnt(0)                                       // 00000001DB70: BF8CC07F
	v_and_b32_e32 v99, 0xffff0000, v97                         // 00000001DB74: 26C6C2FF FFFF0000
	v_lshlrev_b32_e32 v98, 16, v97                             // 00000001DB7C: 24C4C290
	v_and_b32_e32 v97, 0xffff0000, v96                         // 00000001DB80: 26C2C0FF FFFF0000
	v_lshlrev_b32_e32 v96, 16, v96                             // 00000001DB88: 24C0C090
	v_and_b32_e32 v103, 0xffff0000, v101                       // 00000001DB8C: 26CECAFF FFFF0000
	v_lshlrev_b32_e32 v102, 16, v101                           // 00000001DB94: 24CCCA90
	v_and_b32_e32 v101, 0xffff0000, v100                       // 00000001DB98: 26CAC8FF FFFF0000
	v_lshlrev_b32_e32 v100, 16, v100                           // 00000001DBA0: 24C8C890
	v_mov_b32_e32 v48, 0x358637bd                              // 00000001DBA4: 7E6002FF 358637BD
	v_max3_f32 v48, |v96|, |v97|, v48                          // 00000001DBAC: D1D30330 04C2C360
	v_max3_f32 v48, |v98|, |v99|, v48                          // 00000001DBB4: D1D30330 04C2C762
	v_max3_f32 v48, |v100|, |v101|, v48                        // 00000001DBBC: D1D30330 04C2CB64
	v_max3_f32 v48, |v102|, |v103|, v48                        // 00000001DBC4: D1D30330 04C2CF66
	ds_write_b32 v8, v48 offset:16896                          // 00000001DBCC: D81A4200 00003008
	s_waitcnt lgkmcnt(0)                                       // 00000001DBD4: BF8CC07F
	s_barrier                                                  // 00000001DBD8: BF8A0000
	ds_read_b32 v64, v7 offset:16896                           // 00000001DBDC: D86C4200 40000007
	ds_read_b32 v65, v7 offset:16960                           // 00000001DBE4: D86C4240 41000007
	ds_read_b32 v66, v7 offset:17024                           // 00000001DBEC: D86C4280 42000007
	ds_read_b32 v67, v7 offset:17088                           // 00000001DBF4: D86C42C0 43000007
	ds_read_b32 v68, v7 offset:17152                           // 00000001DBFC: D86C4300 44000007
	ds_read_b32 v69, v7 offset:17216                           // 00000001DC04: D86C4340 45000007
	ds_read_b32 v70, v7 offset:17280                           // 00000001DC0C: D86C4380 46000007
	ds_read_b32 v71, v7 offset:17344                           // 00000001DC14: D86C43C0 47000007
	ds_read_b32 v72, v7 offset:17408                           // 00000001DC1C: D86C4400 48000007
	ds_read_b32 v73, v7 offset:17472                           // 00000001DC24: D86C4440 49000007
	ds_read_b32 v74, v7 offset:17536                           // 00000001DC2C: D86C4480 4A000007
	ds_read_b32 v75, v7 offset:17600                           // 00000001DC34: D86C44C0 4B000007
	ds_read_b32 v76, v7 offset:17664                           // 00000001DC3C: D86C4500 4C000007
	ds_read_b32 v77, v7 offset:17728                           // 00000001DC44: D86C4540 4D000007
	ds_read_b32 v78, v7 offset:17792                           // 00000001DC4C: D86C4580 4E000007
	ds_read_b32 v79, v7 offset:17856                           // 00000001DC54: D86C45C0 4F000007
	s_waitcnt lgkmcnt(0)                                       // 00000001DC5C: BF8CC07F
	v_max3_f32 v48, |v64|, |v65|, v48                          // 00000001DC60: D1D30330 04C28340
	v_max3_f32 v48, |v66|, |v67|, v48                          // 00000001DC68: D1D30330 04C28742
	v_max3_f32 v48, |v68|, |v69|, v48                          // 00000001DC70: D1D30330 04C28B44
	v_max3_f32 v48, |v70|, |v71|, v48                          // 00000001DC78: D1D30330 04C28F46
	v_max3_f32 v48, |v72|, |v73|, v48                          // 00000001DC80: D1D30330 04C29348
	v_max3_f32 v48, |v74|, |v75|, v48                          // 00000001DC88: D1D30330 04C2974A
	v_max3_f32 v48, |v76|, |v77|, v48                          // 00000001DC90: D1D30330 04C29B4C
	v_max3_f32 v48, |v78|, |v79|, v48                          // 00000001DC98: D1D30330 04C29F4E
	v_rcp_f32_e32 v48, v48                                     // 00000001DCA0: 7E604530
	s_nop 1                                                    // 00000001DCA4: BF800001
	v_mul_f32_e32 v48, 0x43e00000, v48                         // 00000001DCA8: 0A6060FF 43E00000
	v_mul_f32_e32 v96, v48, v96                                // 00000001DCB0: 0AC0C130
	v_mul_f32_e32 v97, v48, v97                                // 00000001DCB4: 0AC2C330
	v_mul_f32_e32 v98, v48, v98                                // 00000001DCB8: 0AC4C530
	v_mul_f32_e32 v99, v48, v99                                // 00000001DCBC: 0AC6C730
	v_mul_f32_e32 v100, v48, v100                              // 00000001DCC0: 0AC8C930
	v_mul_f32_e32 v101, v48, v101                              // 00000001DCC4: 0ACACB30
	v_mul_f32_e32 v102, v48, v102                              // 00000001DCC8: 0ACCCD30
	v_mul_f32_e32 v103, v48, v103                              // 00000001DCCC: 0ACECF30
	v_rcp_f32_e32 v20, v48                                     // 00000001DCD0: 7E284530
	v_cvt_pk_fp8_f32 v96, v96, v97                             // 00000001DCD4: D2A20060 0002C360
	v_cvt_pk_fp8_f32 v96, v98, v99 op_sel:[0,0,1]              // 00000001DCDC: D2A24060 0002C762
	v_cvt_pk_fp8_f32 v97, v100, v101                           // 00000001DCE4: D2A20061 0002CB64
	v_cvt_pk_fp8_f32 v97, v102, v103 op_sel:[0,0,1]            // 00000001DCEC: D2A24061 0002CF66
	ds_write_b32 v10, v96 offset:25088                         // 00000001DCF4: D81A6200 0000600A
	ds_write_b32 v10, v97 offset:26112                         // 00000001DCFC: D81A6600 0000610A
	s_waitcnt lgkmcnt(0)                                       // 00000001DD04: BF8CC07F
	s_barrier                                                  // 00000001DD08: BF8A0000
	ds_read_b64 v[96:97], v9 offset:25088                      // 00000001DD0C: D8EC6200 60000009
	ds_read_b64 v[98:99], v9 offset:25216                      // 00000001DD14: D8EC6280 62000009
	ds_read_b64 v[100:101], v9 offset:26112                    // 00000001DD1C: D8EC6600 64000009
	ds_read_b64 v[102:103], v9 offset:26240                    // 00000001DD24: D8EC6680 66000009
	v_mov_b32_e32 v224, 0                                      // 00000001DD2C: 7FC00280
	v_mov_b32_e32 v225, 0                                      // 00000001DD30: 7FC20280
	v_mov_b32_e32 v226, 0                                      // 00000001DD34: 7FC40280
	v_mov_b32_e32 v227, 0                                      // 00000001DD38: 7FC60280
	v_mov_b32_e32 v228, 0                                      // 00000001DD3C: 7FC80280
	v_mov_b32_e32 v229, 0                                      // 00000001DD40: 7FCA0280
	v_mov_b32_e32 v230, 0                                      // 00000001DD44: 7FCC0280
	v_mov_b32_e32 v231, 0                                      // 00000001DD48: 7FCE0280
	v_mov_b32_e32 v192, 0                                      // 00000001DD4C: 7F800280
	v_mov_b32_e32 v193, 0                                      // 00000001DD50: 7F820280
	v_mov_b32_e32 v194, 0                                      // 00000001DD54: 7F840280
	v_mov_b32_e32 v195, 0                                      // 00000001DD58: 7F860280
	v_mov_b32_e32 v196, 0                                      // 00000001DD5C: 7F880280
	v_mov_b32_e32 v197, 0                                      // 00000001DD60: 7F8A0280
	v_mov_b32_e32 v198, 0                                      // 00000001DD64: 7F8C0280
	v_mov_b32_e32 v199, 0                                      // 00000001DD68: 7F8E0280
	ds_read_b64 v[104:105], v4 offset:12672                    // 00000001DD6C: D8EC3180 68000004
	ds_read_b64 v[108:109], v4 offset:12800                    // 00000001DD74: D8EC3200 6C000004
	s_waitcnt lgkmcnt(0)                                       // 00000001DD7C: BF8CC07F
	v_and_b32_e32 v107, 0xffff0000, v105                       // 00000001DD80: 26D6D2FF FFFF0000
	v_lshlrev_b32_e32 v106, 16, v105                           // 00000001DD88: 24D4D290
	v_and_b32_e32 v105, 0xffff0000, v104                       // 00000001DD8C: 26D2D0FF FFFF0000
	v_lshlrev_b32_e32 v104, 16, v104                           // 00000001DD94: 24D0D090
	v_and_b32_e32 v111, 0xffff0000, v109                       // 00000001DD98: 26DEDAFF FFFF0000
	v_lshlrev_b32_e32 v110, 16, v109                           // 00000001DDA0: 24DCDA90
	v_and_b32_e32 v109, 0xffff0000, v108                       // 00000001DDA4: 26DAD8FF FFFF0000
	v_lshlrev_b32_e32 v108, 16, v108                           // 00000001DDAC: 24D8D890
	v_mov_b32_e32 v48, 0x358637bd                              // 00000001DDB0: 7E6002FF 358637BD
	v_max3_f32 v48, |v104|, |v105|, v48                        // 00000001DDB8: D1D30330 04C2D368
	v_max3_f32 v48, |v106|, |v107|, v48                        // 00000001DDC0: D1D30330 04C2D76A
	v_max3_f32 v48, |v108|, |v109|, v48                        // 00000001DDC8: D1D30330 04C2DB6C
	v_max3_f32 v48, |v110|, |v111|, v48                        // 00000001DDD0: D1D30330 04C2DF6E
	ds_write_b32 v8, v48 offset:16896                          // 00000001DDD8: D81A4200 00003008
	s_waitcnt lgkmcnt(0)                                       // 00000001DDE0: BF8CC07F
	s_barrier                                                  // 00000001DDE4: BF8A0000
	ds_read_b32 v64, v7 offset:16896                           // 00000001DDE8: D86C4200 40000007
	ds_read_b32 v65, v7 offset:16960                           // 00000001DDF0: D86C4240 41000007
	ds_read_b32 v66, v7 offset:17024                           // 00000001DDF8: D86C4280 42000007
	ds_read_b32 v67, v7 offset:17088                           // 00000001DE00: D86C42C0 43000007
	ds_read_b32 v68, v7 offset:17152                           // 00000001DE08: D86C4300 44000007
	ds_read_b32 v69, v7 offset:17216                           // 00000001DE10: D86C4340 45000007
	ds_read_b32 v70, v7 offset:17280                           // 00000001DE18: D86C4380 46000007
	ds_read_b32 v71, v7 offset:17344                           // 00000001DE20: D86C43C0 47000007
	ds_read_b32 v72, v7 offset:17408                           // 00000001DE28: D86C4400 48000007
	ds_read_b32 v73, v7 offset:17472                           // 00000001DE30: D86C4440 49000007
	ds_read_b32 v74, v7 offset:17536                           // 00000001DE38: D86C4480 4A000007
	ds_read_b32 v75, v7 offset:17600                           // 00000001DE40: D86C44C0 4B000007
	ds_read_b32 v76, v7 offset:17664                           // 00000001DE48: D86C4500 4C000007
	ds_read_b32 v77, v7 offset:17728                           // 00000001DE50: D86C4540 4D000007
	ds_read_b32 v78, v7 offset:17792                           // 00000001DE58: D86C4580 4E000007
	ds_read_b32 v79, v7 offset:17856                           // 00000001DE60: D86C45C0 4F000007
	s_waitcnt lgkmcnt(0)                                       // 00000001DE68: BF8CC07F
	v_max3_f32 v48, |v64|, |v65|, v48                          // 00000001DE6C: D1D30330 04C28340
	v_max3_f32 v48, |v66|, |v67|, v48                          // 00000001DE74: D1D30330 04C28742
	v_max3_f32 v48, |v68|, |v69|, v48                          // 00000001DE7C: D1D30330 04C28B44
	v_max3_f32 v48, |v70|, |v71|, v48                          // 00000001DE84: D1D30330 04C28F46
	v_max3_f32 v48, |v72|, |v73|, v48                          // 00000001DE8C: D1D30330 04C29348
	v_max3_f32 v48, |v74|, |v75|, v48                          // 00000001DE94: D1D30330 04C2974A
	v_max3_f32 v48, |v76|, |v77|, v48                          // 00000001DE9C: D1D30330 04C29B4C
	v_max3_f32 v48, |v78|, |v79|, v48                          // 00000001DEA4: D1D30330 04C29F4E
	v_rcp_f32_e32 v48, v48                                     // 00000001DEAC: 7E604530
	s_nop 1                                                    // 00000001DEB0: BF800001
	v_mul_f32_e32 v48, 0x43e00000, v48                         // 00000001DEB4: 0A6060FF 43E00000
	v_mul_f32_e32 v104, v48, v104                              // 00000001DEBC: 0AD0D130
	v_mul_f32_e32 v105, v48, v105                              // 00000001DEC0: 0AD2D330
	v_mul_f32_e32 v106, v48, v106                              // 00000001DEC4: 0AD4D530
	v_mul_f32_e32 v107, v48, v107                              // 00000001DEC8: 0AD6D730
	v_mul_f32_e32 v108, v48, v108                              // 00000001DECC: 0AD8D930
	v_mul_f32_e32 v109, v48, v109                              // 00000001DED0: 0ADADB30
	v_mul_f32_e32 v110, v48, v110                              // 00000001DED4: 0ADCDD30
	v_mul_f32_e32 v111, v48, v111                              // 00000001DED8: 0ADEDF30
	v_rcp_f32_e32 v21, v48                                     // 00000001DEDC: 7E2A4530
	v_cvt_pk_fp8_f32 v104, v104, v105                          // 00000001DEE0: D2A20068 0002D368
	v_cvt_pk_fp8_f32 v104, v106, v107 op_sel:[0,0,1]           // 00000001DEE8: D2A24068 0002D76A
	v_cvt_pk_fp8_f32 v105, v108, v109                          // 00000001DEF0: D2A20069 0002DB6C
	v_cvt_pk_fp8_f32 v105, v110, v111 op_sel:[0,0,1]           // 00000001DEF8: D2A24069 0002DF6E
	ds_write_b32 v10, v104 offset:25088                        // 00000001DF00: D81A6200 0000680A
	ds_write_b32 v10, v105 offset:26112                        // 00000001DF08: D81A6600 0000690A
	s_waitcnt lgkmcnt(0)                                       // 00000001DF10: BF8CC07F
	s_barrier                                                  // 00000001DF14: BF8A0000
	ds_read_b64 v[104:105], v9 offset:25088                    // 00000001DF18: D8EC6200 68000009
	ds_read_b64 v[106:107], v9 offset:25216                    // 00000001DF20: D8EC6280 6A000009
	ds_read_b64 v[108:109], v9 offset:26112                    // 00000001DF28: D8EC6600 6C000009
	ds_read_b64 v[110:111], v9 offset:26240                    // 00000001DF30: D8EC6680 6E000009
	v_mov_b32_e32 v232, 0                                      // 00000001DF38: 7FD00280
	v_mov_b32_e32 v233, 0                                      // 00000001DF3C: 7FD20280
	v_mov_b32_e32 v234, 0                                      // 00000001DF40: 7FD40280
	v_mov_b32_e32 v235, 0                                      // 00000001DF44: 7FD60280
	v_mov_b32_e32 v236, 0                                      // 00000001DF48: 7FD80280
	v_mov_b32_e32 v237, 0                                      // 00000001DF4C: 7FDA0280
	v_mov_b32_e32 v238, 0                                      // 00000001DF50: 7FDC0280
	v_mov_b32_e32 v239, 0                                      // 00000001DF54: 7FDE0280
	v_mov_b32_e32 v200, 0                                      // 00000001DF58: 7F900280
	v_mov_b32_e32 v201, 0                                      // 00000001DF5C: 7F920280
	v_mov_b32_e32 v202, 0                                      // 00000001DF60: 7F940280
	v_mov_b32_e32 v203, 0                                      // 00000001DF64: 7F960280
	v_mov_b32_e32 v204, 0                                      // 00000001DF68: 7F980280
	v_mov_b32_e32 v205, 0                                      // 00000001DF6C: 7F9A0280
	v_mov_b32_e32 v206, 0                                      // 00000001DF70: 7F9C0280
	v_mov_b32_e32 v207, 0                                      // 00000001DF74: 7F9E0280
	s_waitcnt vmcnt(8) lgkmcnt(0)                              // 00000001DF78: BF8C0078
	s_barrier                                                  // 00000001DF7C: BF8A0000
	s_cmp_lt_u32 s73, 16                                       // 00000001DF80: BF0A9049
	s_cbranch_scc1 label_9755                                  // 00000001DF84: BF8527F3
	s_cmp_lt_i32 s7, 2                                         // 00000001DF88: BF048207
	s_cbranch_scc0 label_835E                                  // 00000001DF8C: BF8413FA

000000000001df90 <label_6F64>:
	s_waitcnt vmcnt(8) lgkmcnt(0)                              // 00000001DF90: BF8C0078
	v_mul_u32_u24_dpp v64, v17, v54 row_newbcast:0 row_mask:0xf bank_mask:0xf// 00000001DF94: 10806CFA FF015011
	v_mul_u32_u24_dpp v65, v17, v54 row_newbcast:4 row_mask:0xf bank_mask:0xf// 00000001DF9C: 10826CFA FF015411
	v_mul_u32_u24_dpp v66, v17, v54 row_newbcast:8 row_mask:0xf bank_mask:0xf// 00000001DFA4: 10846CFA FF015811
	v_mul_u32_u24_dpp v67, v17, v54 row_newbcast:12 row_mask:0xf bank_mask:0xf// 00000001DFAC: 10866CFA FF015C11
	v_add_u32_e32 v26, v64, v5                                 // 00000001DFB4: 68340B40
	v_add_u32_e32 v27, v65, v5                                 // 00000001DFB8: 68360B41
	v_add_u32_e32 v28, v66, v5                                 // 00000001DFBC: 68380B42
	v_add_u32_e32 v29, v67, v5                                 // 00000001DFC0: 683A0B43
	v_mul_u32_u24_dpp v64, v17, v63 quad_perm:[0,0,0,0] row_mask:0xf bank_mask:0xf// 00000001DFC4: 10807EFA FF000011
	v_add_u32_e32 v3, v64, v59                                 // 00000001DFCC: 68067740
	v_mul_u32_u24_dpp v64, v17, v63 quad_perm:[0,0,0,0] row_mask:0xf bank_mask:0xf// 00000001DFD0: 10807EFA FF000011
	v_add_u32_e32 v56, v64, v60                                // 00000001DFD8: 68707940
	v_mfma_f32_16x16x32_fp8_fp8 v[112:115], a[0:1], v[80:81], 0// 00000001DFDC: D3F30070 0A02A100
	v_mfma_f32_16x16x32_fp8_fp8 v[112:115], a[2:3], v[82:83], v[112:115]// 00000001DFE4: D3F30070 0DC2A502
	buffer_load_dwordx4 a[32:35], v26, s[16:19], 0 offen       // 00000001DFEC: E05C1000 8084201A
	v_mfma_f32_16x16x32_fp8_fp8 v[112:115], a[4:5], v[84:85], v[112:115]// 00000001DFF4: D3F30070 0DC2A904
	v_mfma_f32_16x16x32_fp8_fp8 v[112:115], a[6:7], v[86:87], v[112:115]// 00000001DFFC: D3F30070 0DC2AD06
	buffer_load_dword v16, v1, s[24:27], 0 offen               // 00000001E004: E0501000 80061001
	v_mfma_f32_16x16x32_fp8_fp8 v[116:119], a[8:9], v[80:81], 0// 00000001E00C: D3F30074 0A02A108
	v_mfma_f32_16x16x32_fp8_fp8 v[116:119], a[10:11], v[82:83], v[116:119]// 00000001E014: D3F30074 0DD2A50A
	buffer_load_dwordx4 a[36:39], v26, s[16:19], 0 offen offset:1024// 00000001E01C: E05C1400 8084241A
	v_mfma_f32_16x16x32_fp8_fp8 v[116:119], a[12:13], v[84:85], v[116:119]// 00000001E024: D3F30074 0DD2A90C
	v_mfma_f32_16x16x32_fp8_fp8 v[116:119], a[14:15], v[86:87], v[116:119]// 00000001E02C: D3F30074 0DD2AD0E
	v_mfma_f32_16x16x32_fp8_fp8 v[120:123], a[16:17], v[80:81], 0// 00000001E034: D3F30078 0A02A110
	v_mfma_f32_16x16x32_fp8_fp8 v[120:123], a[18:19], v[82:83], v[120:123]// 00000001E03C: D3F30078 0DE2A512
	buffer_load_dwordx4 a[40:43], v27, s[16:19], 0 offen       // 00000001E044: E05C1000 8084281B
	v_mfma_f32_16x16x32_fp8_fp8 v[120:123], a[20:21], v[84:85], v[120:123]// 00000001E04C: D3F30078 0DE2A914
	v_mfma_f32_16x16x32_fp8_fp8 v[120:123], a[22:23], v[86:87], v[120:123]// 00000001E054: D3F30078 0DE2AD16
	v_mfma_f32_16x16x32_fp8_fp8 v[124:127], a[24:25], v[80:81], 0// 00000001E05C: D3F3007C 0A02A118
	v_mfma_f32_16x16x32_fp8_fp8 v[124:127], a[26:27], v[82:83], v[124:127]// 00000001E064: D3F3007C 0DF2A51A
	buffer_load_dwordx4 a[44:47], v27, s[16:19], 0 offen offset:1024// 00000001E06C: E05C1400 80842C1B
	v_mfma_f32_16x16x32_fp8_fp8 v[124:127], a[28:29], v[84:85], v[124:127]// 00000001E074: D3F3007C 0DF2A91C
	v_mfma_f32_16x16x32_fp8_fp8 v[124:127], a[30:31], v[86:87], v[124:127]// 00000001E07C: D3F3007C 0DF2AD1E
	v_mfma_f32_16x16x32_fp8_fp8 v[128:131], a[0:1], v[88:89], 0// 00000001E084: D3F30080 0A02B100
	v_mfma_f32_16x16x32_fp8_fp8 v[128:131], a[2:3], v[90:91], v[128:131]// 00000001E08C: D3F30080 0E02B502
	v_mfma_f32_16x16x32_fp8_fp8 v[128:131], a[4:5], v[92:93], v[128:131]// 00000001E094: D3F30080 0E02B904
	v_mfma_f32_16x16x32_fp8_fp8 v[128:131], a[6:7], v[94:95], v[128:131]// 00000001E09C: D3F30080 0E02BD06
	v_mfma_f32_16x16x32_fp8_fp8 v[132:135], a[8:9], v[88:89], 0// 00000001E0A4: D3F30084 0A02B108
	v_mfma_f32_16x16x32_fp8_fp8 v[132:135], a[10:11], v[90:91], v[132:135]// 00000001E0AC: D3F30084 0E12B50A
	v_mfma_f32_16x16x32_fp8_fp8 v[132:135], a[12:13], v[92:93], v[132:135]// 00000001E0B4: D3F30084 0E12B90C
	v_mfma_f32_16x16x32_fp8_fp8 v[132:135], a[14:15], v[94:95], v[132:135]// 00000001E0BC: D3F30084 0E12BD0E
	v_mfma_f32_16x16x32_fp8_fp8 v[136:139], a[16:17], v[88:89], 0// 00000001E0C4: D3F30088 0A02B110
	v_mfma_f32_16x16x32_fp8_fp8 v[136:139], a[18:19], v[90:91], v[136:139]// 00000001E0CC: D3F30088 0E22B512
	v_mfma_f32_16x16x32_fp8_fp8 v[136:139], a[20:21], v[92:93], v[136:139]// 00000001E0D4: D3F30088 0E22B914
	v_mfma_f32_16x16x32_fp8_fp8 v[136:139], a[22:23], v[94:95], v[136:139]// 00000001E0DC: D3F30088 0E22BD16
	v_mfma_f32_16x16x32_fp8_fp8 v[140:143], a[24:25], v[88:89], 0// 00000001E0E4: D3F3008C 0A02B118
	v_mfma_f32_16x16x32_fp8_fp8 v[140:143], a[26:27], v[90:91], v[140:143]// 00000001E0EC: D3F3008C 0E32B51A
	v_mfma_f32_16x16x32_fp8_fp8 v[140:143], a[28:29], v[92:93], v[140:143]// 00000001E0F4: D3F3008C 0E32B91C
	v_mfma_f32_16x16x32_fp8_fp8 v[140:143], a[30:31], v[94:95], v[140:143]// 00000001E0FC: D3F3008C 0E32BD1E
	v_mfma_f32_16x16x32_fp8_fp8 v[144:147], a[0:1], v[96:97], 0// 00000001E104: D3F30090 0A02C100
	v_mfma_f32_16x16x32_fp8_fp8 v[144:147], a[2:3], v[98:99], v[144:147]// 00000001E10C: D3F30090 0E42C502
	v_mfma_f32_16x16x32_fp8_fp8 v[144:147], a[4:5], v[100:101], v[144:147]// 00000001E114: D3F30090 0E42C904
	v_mfma_f32_16x16x32_fp8_fp8 v[144:147], a[6:7], v[102:103], v[144:147]// 00000001E11C: D3F30090 0E42CD06
	v_mfma_f32_16x16x32_fp8_fp8 v[148:151], a[8:9], v[96:97], 0// 00000001E124: D3F30094 0A02C108
	v_mfma_f32_16x16x32_fp8_fp8 v[148:151], a[10:11], v[98:99], v[148:151]// 00000001E12C: D3F30094 0E52C50A
	v_mfma_f32_16x16x32_fp8_fp8 v[148:151], a[12:13], v[100:101], v[148:151]// 00000001E134: D3F30094 0E52C90C
	v_mfma_f32_16x16x32_fp8_fp8 v[148:151], a[14:15], v[102:103], v[148:151]// 00000001E13C: D3F30094 0E52CD0E
	v_mfma_f32_16x16x32_fp8_fp8 v[152:155], a[16:17], v[96:97], 0// 00000001E144: D3F30098 0A02C110
	v_mfma_f32_16x16x32_fp8_fp8 v[152:155], a[18:19], v[98:99], v[152:155]// 00000001E14C: D3F30098 0E62C512
	v_mfma_f32_16x16x32_fp8_fp8 v[152:155], a[20:21], v[100:101], v[152:155]// 00000001E154: D3F30098 0E62C914
	v_mfma_f32_16x16x32_fp8_fp8 v[152:155], a[22:23], v[102:103], v[152:155]// 00000001E15C: D3F30098 0E62CD16
	v_mfma_f32_16x16x32_fp8_fp8 v[156:159], a[24:25], v[96:97], 0// 00000001E164: D3F3009C 0A02C118
	v_mfma_f32_16x16x32_fp8_fp8 v[156:159], a[26:27], v[98:99], v[156:159]// 00000001E16C: D3F3009C 0E72C51A
	v_mfma_f32_16x16x32_fp8_fp8 v[156:159], a[28:29], v[100:101], v[156:159]// 00000001E174: D3F3009C 0E72C91C
	v_mfma_f32_16x16x32_fp8_fp8 v[156:159], a[30:31], v[102:103], v[156:159]// 00000001E17C: D3F3009C 0E72CD1E
	v_mfma_f32_16x16x32_fp8_fp8 v[160:163], a[0:1], v[104:105], 0// 00000001E184: D3F300A0 0A02D100
	v_mfma_f32_16x16x32_fp8_fp8 v[160:163], a[2:3], v[106:107], v[160:163]// 00000001E18C: D3F300A0 0E82D502
	v_mfma_f32_16x16x32_fp8_fp8 v[160:163], a[4:5], v[108:109], v[160:163]// 00000001E194: D3F300A0 0E82D904
	v_mfma_f32_16x16x32_fp8_fp8 v[160:163], a[6:7], v[110:111], v[160:163]// 00000001E19C: D3F300A0 0E82DD06
	v_mfma_f32_16x16x32_fp8_fp8 v[164:167], a[8:9], v[104:105], 0// 00000001E1A4: D3F300A4 0A02D108
	v_mfma_f32_16x16x32_fp8_fp8 v[164:167], a[10:11], v[106:107], v[164:167]// 00000001E1AC: D3F300A4 0E92D50A
	v_mfma_f32_16x16x32_fp8_fp8 v[164:167], a[12:13], v[108:109], v[164:167]// 00000001E1B4: D3F300A4 0E92D90C
	v_mfma_f32_16x16x32_fp8_fp8 v[164:167], a[14:15], v[110:111], v[164:167]// 00000001E1BC: D3F300A4 0E92DD0E
	v_mfma_f32_16x16x32_fp8_fp8 v[168:171], a[16:17], v[104:105], 0// 00000001E1C4: D3F300A8 0A02D110
	v_mfma_f32_16x16x32_fp8_fp8 v[168:171], a[18:19], v[106:107], v[168:171]// 00000001E1CC: D3F300A8 0EA2D512
	v_mfma_f32_16x16x32_fp8_fp8 v[168:171], a[20:21], v[108:109], v[168:171]// 00000001E1D4: D3F300A8 0EA2D914
	v_mfma_f32_16x16x32_fp8_fp8 v[168:171], a[22:23], v[110:111], v[168:171]// 00000001E1DC: D3F300A8 0EA2DD16
	v_mfma_f32_16x16x32_fp8_fp8 v[172:175], a[24:25], v[104:105], 0// 00000001E1E4: D3F300AC 0A02D118
	v_mfma_f32_16x16x32_fp8_fp8 v[172:175], a[26:27], v[106:107], v[172:175]// 00000001E1EC: D3F300AC 0EB2D51A
	v_mfma_f32_16x16x32_fp8_fp8 v[172:175], a[28:29], v[108:109], v[172:175]// 00000001E1F4: D3F300AC 0EB2D91C
	v_mfma_f32_16x16x32_fp8_fp8 v[172:175], a[30:31], v[110:111], v[172:175]// 00000001E1FC: D3F300AC 0EB2DD1E
	buffer_load_dword v43, v3, s[32:35], 0 offen               // 00000001E204: E0501000 80082B03
	v_mov_b32_dpp v64, v42 row_shr:4 row_mask:0xf bank_mask:0xf// 00000001E20C: 7E8002FA FF01142A
	v_mov_b32_dpp v65, v42 row_shl:4 row_mask:0xf bank_mask:0xf// 00000001E214: 7E8202FA FF01042A
	v_cndmask_b32_e64 v248, v42, v64, s[44:45]                 // 00000001E21C: D10000F8 00B2812A
	v_cndmask_b32_e64 v249, v65, v42, s[44:45]                 // 00000001E224: D10000F9 00B25541
	v_mov_b32_dpp v64, v248 row_shr:8 row_mask:0xf bank_mask:0xf// 00000001E22C: 7E8002FA FF0118F8
	v_mov_b32_dpp v65, v248 row_shl:8 row_mask:0xf bank_mask:0xf// 00000001E234: 7E8202FA FF0108F8
	v_mov_b32_dpp v66, v249 row_shr:8 row_mask:0xf bank_mask:0xf// 00000001E23C: 7E8402FA FF0118F9
	v_mov_b32_dpp v67, v249 row_shl:8 row_mask:0xf bank_mask:0xf// 00000001E244: 7E8602FA FF0108F9
	v_mov_b32_e32 v68, v248                                    // 00000001E24C: 7E8803F8
	v_mov_b32_e32 v69, v249                                    // 00000001E250: 7E8A03F9
	v_cndmask_b32_e64 v248, v68, v64, s[42:43]                 // 00000001E254: D10000F8 00AA8144
	v_cndmask_b32_e64 v250, v68, v65, s[78:79]                 // 00000001E25C: D10000FA 013A8344
	v_cndmask_b32_e64 v249, v69, v66, s[42:43]                 // 00000001E264: D10000F9 00AA8545
	v_cndmask_b32_e64 v251, v69, v67, s[78:79]                 // 00000001E26C: D10000FB 013A8745
	v_mov_b32_dpp v64, v57 row_shr:4 row_mask:0xf bank_mask:0xf// 00000001E274: 7E8002FA FF011439
	v_mov_b32_dpp v65, v57 row_shl:4 row_mask:0xf bank_mask:0xf// 00000001E27C: 7E8202FA FF010439
	v_cndmask_b32_e64 v252, v57, v64, s[44:45]                 // 00000001E284: D10000FC 00B28139
	v_cndmask_b32_e64 v253, v65, v57, s[44:45]                 // 00000001E28C: D10000FD 00B27341
	v_mov_b32_dpp v64, v252 row_shr:8 row_mask:0xf bank_mask:0xf// 00000001E294: 7E8002FA FF0118FC
	v_mov_b32_dpp v65, v252 row_shl:8 row_mask:0xf bank_mask:0xf// 00000001E29C: 7E8202FA FF0108FC
	v_mov_b32_dpp v66, v253 row_shr:8 row_mask:0xf bank_mask:0xf// 00000001E2A4: 7E8402FA FF0118FD
	v_mov_b32_dpp v67, v253 row_shl:8 row_mask:0xf bank_mask:0xf// 00000001E2AC: 7E8602FA FF0108FD
	v_mov_b32_e32 v68, v252                                    // 00000001E2B4: 7E8803FC
	v_mov_b32_e32 v69, v253                                    // 00000001E2B8: 7E8A03FD
	v_cndmask_b32_e64 v252, v68, v64, s[42:43]                 // 00000001E2BC: D10000FC 00AA8144
	v_cndmask_b32_e64 v254, v68, v65, s[78:79]                 // 00000001E2C4: D10000FE 013A8344
	v_cndmask_b32_e64 v253, v69, v66, s[42:43]                 // 00000001E2CC: D10000FD 00AA8545
	v_cndmask_b32_e64 v255, v69, v67, s[78:79]                 // 00000001E2D4: D10000FF 013A8745
	buffer_load_dword v58, v56, s[36:39], 0 offen              // 00000001E2DC: E0501000 80093A38
	v_mul_f32_e32 v112, v18, v112                              // 00000001E2E4: 0AE0E112
	v_mul_f32_e32 v113, v18, v113                              // 00000001E2E8: 0AE2E312
	v_mul_f32_e32 v114, v18, v114                              // 00000001E2EC: 0AE4E512
	v_mul_f32_e32 v115, v18, v115                              // 00000001E2F0: 0AE6E712
	v_mul_f32_e32 v116, v18, v116                              // 00000001E2F4: 0AE8E912
	v_mul_f32_e32 v117, v18, v117                              // 00000001E2F8: 0AEAEB12
	v_mul_f32_e32 v118, v18, v118                              // 00000001E2FC: 0AECED12
	v_mul_f32_e32 v119, v18, v119                              // 00000001E300: 0AEEEF12
	v_mul_f32_e32 v120, v18, v120                              // 00000001E304: 0AF0F112
	v_mul_f32_e32 v121, v18, v121                              // 00000001E308: 0AF2F312
	v_mul_f32_e32 v122, v18, v122                              // 00000001E30C: 0AF4F512
	v_mul_f32_e32 v123, v18, v123                              // 00000001E310: 0AF6F712
	v_mul_f32_e32 v124, v18, v124                              // 00000001E314: 0AF8F912
	v_mul_f32_e32 v125, v18, v125                              // 00000001E318: 0AFAFB12
	v_mul_f32_e32 v126, v18, v126                              // 00000001E31C: 0AFCFD12
	v_mul_f32_e32 v127, v18, v127                              // 00000001E320: 0AFEFF12
	buffer_load_dwordx4 a[48:51], v28, s[16:19], 0 offen       // 00000001E324: E05C1000 8084301C
	v_mul_f32_dpp v112, v248, v112 quad_perm:[0,0,0,0] row_mask:0xf bank_mask:0xf// 00000001E32C: 0AE0E0FA FF0000F8
	v_mul_f32_dpp v113, v248, v113 quad_perm:[1,1,1,1] row_mask:0xf bank_mask:0xf// 00000001E334: 0AE2E2FA FF0055F8
	v_mul_f32_dpp v114, v248, v114 quad_perm:[2,2,2,2] row_mask:0xf bank_mask:0xf// 00000001E33C: 0AE4E4FA FF00AAF8
	v_mul_f32_dpp v115, v248, v115 quad_perm:[3,3,3,3] row_mask:0xf bank_mask:0xf// 00000001E344: 0AE6E6FA FF00FFF8
	v_mul_f32_dpp v116, v249, v116 quad_perm:[0,0,0,0] row_mask:0xf bank_mask:0xf// 00000001E34C: 0AE8E8FA FF0000F9
	v_mul_f32_dpp v117, v249, v117 quad_perm:[1,1,1,1] row_mask:0xf bank_mask:0xf// 00000001E354: 0AEAEAFA FF0055F9
	v_mul_f32_dpp v118, v249, v118 quad_perm:[2,2,2,2] row_mask:0xf bank_mask:0xf// 00000001E35C: 0AECECFA FF00AAF9
	v_mul_f32_dpp v119, v249, v119 quad_perm:[3,3,3,3] row_mask:0xf bank_mask:0xf// 00000001E364: 0AEEEEFA FF00FFF9
	v_mul_f32_dpp v120, v250, v120 quad_perm:[0,0,0,0] row_mask:0xf bank_mask:0xf// 00000001E36C: 0AF0F0FA FF0000FA
	v_mul_f32_dpp v121, v250, v121 quad_perm:[1,1,1,1] row_mask:0xf bank_mask:0xf// 00000001E374: 0AF2F2FA FF0055FA
	v_mul_f32_dpp v122, v250, v122 quad_perm:[2,2,2,2] row_mask:0xf bank_mask:0xf// 00000001E37C: 0AF4F4FA FF00AAFA
	v_mul_f32_dpp v123, v250, v123 quad_perm:[3,3,3,3] row_mask:0xf bank_mask:0xf// 00000001E384: 0AF6F6FA FF00FFFA
	v_mul_f32_dpp v124, v251, v124 quad_perm:[0,0,0,0] row_mask:0xf bank_mask:0xf// 00000001E38C: 0AF8F8FA FF0000FB
	v_mul_f32_dpp v125, v251, v125 quad_perm:[1,1,1,1] row_mask:0xf bank_mask:0xf// 00000001E394: 0AFAFAFA FF0055FB
	v_mul_f32_dpp v126, v251, v126 quad_perm:[2,2,2,2] row_mask:0xf bank_mask:0xf// 00000001E39C: 0AFCFCFA FF00AAFB
	v_mul_f32_dpp v127, v251, v127 quad_perm:[3,3,3,3] row_mask:0xf bank_mask:0xf// 00000001E3A4: 0AFEFEFA FF00FFFB
	buffer_load_dwordx4 a[52:55], v28, s[16:19], 0 offen offset:1024// 00000001E3AC: E05C1400 8084341C
	s_cmp_le_i32 s90, s89                                      // 00000001E3B4: BF05595A
	s_cbranch_scc1 label_70E0                                  // 00000001E3B8: BF850071
	v_mov_b32_e32 v66, 0xff800000                              // 00000001E3BC: 7E8402FF FF800000
	s_mov_b32 s60, s90                                         // 00000001E3C4: BEBC005A
	s_add_u32 s61, s89, 0xff                                   // 00000001E3C8: 803DFF59 000000FF
	v_mov_b32_e32 v64, s61                                     // 00000001E3D0: 7E80023D
	v_lshrrev_b32_e32 v240, 4, v0                              // 00000001E3D4: 21E00084
	v_mul_i32_i24_e32 v240, 4, v240                            // 00000001E3D8: 0DE1E084
	v_add_u32_e32 v240, s60, v240                              // 00000001E3DC: 69E1E03C
	s_mov_b32 s61, 0                                           // 00000001E3E0: BEBD0080
	s_mul_i32 s60, 16, s7                                      // 00000001E3E4: 923C0790
	v_sub_u32_e64 v240, v240, s61                              // 00000001E3E8: D13500F0 00007BF0
	v_add_u32_e32 v240, s60, v240                              // 00000001E3F0: 69E1E03C
	v_add_u32_e32 v241, 1, v240                                // 00000001E3F4: 69E3E081
	v_add_u32_e32 v242, 2, v240                                // 00000001E3F8: 69E5E082
	v_add_u32_e32 v243, 3, v240                                // 00000001E3FC: 69E7E083
	v_cmp_le_u32_e64 s[40:41], v240, v64                       // 00000001E400: D0CB0028 000281F0
	v_add_u32_e32 v240, 64, v240                               // 00000001E408: 69E1E0C0
	s_nop 0                                                    // 00000001E40C: BF800000
	v_cndmask_b32_e64 v112, v66, v112, s[40:41]                // 00000001E410: D1000070 00A2E142
	v_cmp_le_u32_e64 s[40:41], v241, v64                       // 00000001E418: D0CB0028 000281F1
	v_add_u32_e32 v241, 64, v241                               // 00000001E420: 69E3E2C0
	s_nop 0                                                    // 00000001E424: BF800000
	v_cndmask_b32_e64 v113, v66, v113, s[40:41]                // 00000001E428: D1000071 00A2E342
	v_cmp_le_u32_e64 s[40:41], v242, v64                       // 00000001E430: D0CB0028 000281F2
	v_add_u32_e32 v242, 64, v242                               // 00000001E438: 69E5E4C0
	s_nop 0                                                    // 00000001E43C: BF800000
	v_cndmask_b32_e64 v114, v66, v114, s[40:41]                // 00000001E440: D1000072 00A2E542
	v_cmp_le_u32_e64 s[40:41], v243, v64                       // 00000001E448: D0CB0028 000281F3
	v_add_u32_e32 v243, 64, v243                               // 00000001E450: 69E7E6C0
	s_nop 0                                                    // 00000001E454: BF800000
	v_cndmask_b32_e64 v115, v66, v115, s[40:41]                // 00000001E458: D1000073 00A2E742
	v_cmp_le_u32_e64 s[40:41], v240, v64                       // 00000001E460: D0CB0028 000281F0
	v_add_u32_e32 v240, 64, v240                               // 00000001E468: 69E1E0C0
	s_nop 0                                                    // 00000001E46C: BF800000
	v_cndmask_b32_e64 v116, v66, v116, s[40:41]                // 00000001E470: D1000074 00A2E942
	v_cmp_le_u32_e64 s[40:41], v241, v64                       // 00000001E478: D0CB0028 000281F1
	v_add_u32_e32 v241, 64, v241                               // 00000001E480: 69E3E2C0
	s_nop 0                                                    // 00000001E484: BF800000
	v_cndmask_b32_e64 v117, v66, v117, s[40:41]                // 00000001E488: D1000075 00A2EB42
	v_cmp_le_u32_e64 s[40:41], v242, v64                       // 00000001E490: D0CB0028 000281F2
	v_add_u32_e32 v242, 64, v242                               // 00000001E498: 69E5E4C0
	s_nop 0                                                    // 00000001E49C: BF800000
	v_cndmask_b32_e64 v118, v66, v118, s[40:41]                // 00000001E4A0: D1000076 00A2ED42
	v_cmp_le_u32_e64 s[40:41], v243, v64                       // 00000001E4A8: D0CB0028 000281F3
	v_add_u32_e32 v243, 64, v243                               // 00000001E4B0: 69E7E6C0
	s_nop 0                                                    // 00000001E4B4: BF800000
	v_cndmask_b32_e64 v119, v66, v119, s[40:41]                // 00000001E4B8: D1000077 00A2EF42
	v_cmp_le_u32_e64 s[40:41], v240, v64                       // 00000001E4C0: D0CB0028 000281F0
	v_add_u32_e32 v240, 64, v240                               // 00000001E4C8: 69E1E0C0
	s_nop 0                                                    // 00000001E4CC: BF800000
	v_cndmask_b32_e64 v120, v66, v120, s[40:41]                // 00000001E4D0: D1000078 00A2F142
	v_cmp_le_u32_e64 s[40:41], v241, v64                       // 00000001E4D8: D0CB0028 000281F1
	v_add_u32_e32 v241, 64, v241                               // 00000001E4E0: 69E3E2C0
	s_nop 0                                                    // 00000001E4E4: BF800000
	v_cndmask_b32_e64 v121, v66, v121, s[40:41]                // 00000001E4E8: D1000079 00A2F342
	v_cmp_le_u32_e64 s[40:41], v242, v64                       // 00000001E4F0: D0CB0028 000281F2
	v_add_u32_e32 v242, 64, v242                               // 00000001E4F8: 69E5E4C0
	s_nop 0                                                    // 00000001E4FC: BF800000
	v_cndmask_b32_e64 v122, v66, v122, s[40:41]                // 00000001E500: D100007A 00A2F542
	v_cmp_le_u32_e64 s[40:41], v243, v64                       // 00000001E508: D0CB0028 000281F3
	v_add_u32_e32 v243, 64, v243                               // 00000001E510: 69E7E6C0
	s_nop 0                                                    // 00000001E514: BF800000
	v_cndmask_b32_e64 v123, v66, v123, s[40:41]                // 00000001E518: D100007B 00A2F742
	v_cmp_le_u32_e64 s[40:41], v240, v64                       // 00000001E520: D0CB0028 000281F0
	v_add_u32_e32 v240, 64, v240                               // 00000001E528: 69E1E0C0
	s_nop 0                                                    // 00000001E52C: BF800000
	v_cndmask_b32_e64 v124, v66, v124, s[40:41]                // 00000001E530: D100007C 00A2F942
	v_cmp_le_u32_e64 s[40:41], v241, v64                       // 00000001E538: D0CB0028 000281F1
	v_add_u32_e32 v241, 64, v241                               // 00000001E540: 69E3E2C0
	s_nop 0                                                    // 00000001E544: BF800000
	v_cndmask_b32_e64 v125, v66, v125, s[40:41]                // 00000001E548: D100007D 00A2FB42
	v_cmp_le_u32_e64 s[40:41], v242, v64                       // 00000001E550: D0CB0028 000281F2
	v_add_u32_e32 v242, 64, v242                               // 00000001E558: 69E5E4C0
	s_nop 0                                                    // 00000001E55C: BF800000
	v_cndmask_b32_e64 v126, v66, v126, s[40:41]                // 00000001E560: D100007E 00A2FD42
	v_cmp_le_u32_e64 s[40:41], v243, v64                       // 00000001E568: D0CB0028 000281F3
	v_add_u32_e32 v243, 64, v243                               // 00000001E570: 69E7E6C0
	s_nop 0                                                    // 00000001E574: BF800000
	v_cndmask_b32_e64 v127, v66, v127, s[40:41]                // 00000001E578: D100007F 00A2FF42

000000000001e580 <label_70E0>:
	v_mov_b32_e32 v48, v112                                    // 00000001E580: 7E600370
	v_max3_f32 v48, v112, v113, v48                            // 00000001E584: D1D30030 04C2E370
	v_max3_f32 v48, v114, v115, v48                            // 00000001E58C: D1D30030 04C2E772
	v_max3_f32 v48, v116, v117, v48                            // 00000001E594: D1D30030 04C2EB74
	v_max3_f32 v48, v118, v119, v48                            // 00000001E59C: D1D30030 04C2EF76
	v_max3_f32 v48, v120, v121, v48                            // 00000001E5A4: D1D30030 04C2F378
	v_max3_f32 v48, v122, v123, v48                            // 00000001E5AC: D1D30030 04C2F77A
	v_max3_f32 v48, v124, v125, v48                            // 00000001E5B4: D1D30030 04C2FB7C
	v_max3_f32 v48, v126, v127, v48                            // 00000001E5BC: D1D30030 04C2FF7E
	ds_write_b32 v8, v48 offset:16896                          // 00000001E5C4: D81A4200 00003008
	buffer_load_dwordx4 a[56:59], v29, s[16:19], 0 offen       // 00000001E5CC: E05C1000 8084381D
	v_mul_u32_u24_dpp v64, v17, v54 row_newbcast:1 row_mask:0xf bank_mask:0xf// 00000001E5D4: 10806CFA FF015111
	v_mul_u32_u24_dpp v65, v17, v54 row_newbcast:5 row_mask:0xf bank_mask:0xf// 00000001E5DC: 10826CFA FF015511
	v_mul_u32_u24_dpp v66, v17, v54 row_newbcast:9 row_mask:0xf bank_mask:0xf// 00000001E5E4: 10846CFA FF015911
	v_mul_u32_u24_dpp v67, v17, v54 row_newbcast:13 row_mask:0xf bank_mask:0xf// 00000001E5EC: 10866CFA FF015D11
	v_add_u32_e32 v34, v64, v6                                 // 00000001E5F4: 68440D40
	v_add_u32_e32 v35, v65, v6                                 // 00000001E5F8: 68460D41
	v_add_u32_e32 v36, v66, v6                                 // 00000001E5FC: 68480D42
	v_add_u32_e32 v37, v67, v6                                 // 00000001E600: 684A0D43
	v_mul_f32_e32 v208, v49, v208                              // 00000001E604: 0BA1A131
	v_mul_f32_e32 v209, v49, v209                              // 00000001E608: 0BA3A331
	v_mul_f32_e32 v210, v49, v210                              // 00000001E60C: 0BA5A531
	v_mul_f32_e32 v211, v49, v211                              // 00000001E610: 0BA7A731
	v_mul_f32_e32 v212, v49, v212                              // 00000001E614: 0BA9A931
	v_mul_f32_e32 v213, v49, v213                              // 00000001E618: 0BABAB31
	v_mul_f32_e32 v214, v49, v214                              // 00000001E61C: 0BADAD31
	v_mul_f32_e32 v215, v49, v215                              // 00000001E620: 0BAFAF31
	s_waitcnt lgkmcnt(0)                                       // 00000001E624: BF8CC07F
	s_barrier                                                  // 00000001E628: BF8A0000
	ds_read_b32 v64, v7 offset:16896                           // 00000001E62C: D86C4200 40000007
	ds_read_b32 v65, v7 offset:16960                           // 00000001E634: D86C4240 41000007
	ds_read_b32 v66, v7 offset:17024                           // 00000001E63C: D86C4280 42000007
	ds_read_b32 v67, v7 offset:17088                           // 00000001E644: D86C42C0 43000007
	ds_read_b32 v68, v7 offset:17152                           // 00000001E64C: D86C4300 44000007
	ds_read_b32 v69, v7 offset:17216                           // 00000001E654: D86C4340 45000007
	ds_read_b32 v70, v7 offset:17280                           // 00000001E65C: D86C4380 46000007
	ds_read_b32 v71, v7 offset:17344                           // 00000001E664: D86C43C0 47000007
	ds_read_b32 v72, v7 offset:17408                           // 00000001E66C: D86C4400 48000007
	ds_read_b32 v73, v7 offset:17472                           // 00000001E674: D86C4440 49000007
	ds_read_b32 v74, v7 offset:17536                           // 00000001E67C: D86C4480 4A000007
	ds_read_b32 v75, v7 offset:17600                           // 00000001E684: D86C44C0 4B000007
	ds_read_b32 v76, v7 offset:17664                           // 00000001E68C: D86C4500 4C000007
	ds_read_b32 v77, v7 offset:17728                           // 00000001E694: D86C4540 4D000007
	ds_read_b32 v78, v7 offset:17792                           // 00000001E69C: D86C4580 4E000007
	ds_read_b32 v79, v7 offset:17856                           // 00000001E6A4: D86C45C0 4F000007
	buffer_load_dwordx4 a[60:63], v29, s[16:19], 0 offen offset:1024// 00000001E6AC: E05C1400 80843C1D
	v_mul_f32_e32 v176, v44, v176                              // 00000001E6B4: 0B61612C
	v_mul_f32_e32 v177, v44, v177                              // 00000001E6B8: 0B63632C
	v_mul_f32_e32 v178, v44, v178                              // 00000001E6BC: 0B65652C
	v_mul_f32_e32 v179, v44, v179                              // 00000001E6C0: 0B67672C
	v_mul_f32_e32 v180, v44, v180                              // 00000001E6C4: 0B69692C
	v_mul_f32_e32 v181, v44, v181                              // 00000001E6C8: 0B6B6B2C
	v_mul_f32_e32 v182, v44, v182                              // 00000001E6CC: 0B6D6D2C
	v_mul_f32_e32 v183, v44, v183                              // 00000001E6D0: 0B6F6F2C
	s_waitcnt lgkmcnt(0)                                       // 00000001E6D4: BF8CC07F
	v_max3_f32 v48, v64, v65, v48                              // 00000001E6D8: D1D30030 04C28340
	v_max3_f32 v48, v66, v67, v48                              // 00000001E6E0: D1D30030 04C28742
	v_max3_f32 v48, v68, v69, v48                              // 00000001E6E8: D1D30030 04C28B44
	v_max3_f32 v48, v70, v71, v48                              // 00000001E6F0: D1D30030 04C28F46
	v_max3_f32 v48, v72, v73, v48                              // 00000001E6F8: D1D30030 04C29348
	v_max3_f32 v48, v74, v75, v48                              // 00000001E700: D1D30030 04C2974A
	v_max3_f32 v48, v76, v77, v48                              // 00000001E708: D1D30030 04C29B4C
	v_max3_f32 v48, v78, v79, v48                              // 00000001E710: D1D30030 04C29F4E
	buffer_load_dwordx4 a[96:99], v34, s[20:23], 0 offen       // 00000001E718: E05C1000 80856022
	v_mov_b32_e32 v64, 0xff800000                              // 00000001E720: 7E8002FF FF800000
	v_cmp_eq_u32_e64 s[40:41], v64, v11                        // 00000001E728: D0CA0028 00021740
	s_nop 1                                                    // 00000001E730: BF800001
	v_max_f32_e32 v15, v48, v11                                // 00000001E734: 161E1730
	v_mul_f32_e32 v53, s64, v15                                // 00000001E738: 0A6A1E40
	v_fma_f32 v112, v112, s64, -v53                            // 00000001E73C: D1CB0070 84D48170
	v_fma_f32 v113, v113, s64, -v53                            // 00000001E744: D1CB0071 84D48171
	v_fma_f32 v114, v114, s64, -v53                            // 00000001E74C: D1CB0072 84D48172
	v_fma_f32 v115, v115, s64, -v53                            // 00000001E754: D1CB0073 84D48173
	v_fma_f32 v116, v116, s64, -v53                            // 00000001E75C: D1CB0074 84D48174
	v_fma_f32 v117, v117, s64, -v53                            // 00000001E764: D1CB0075 84D48175
	v_fma_f32 v118, v118, s64, -v53                            // 00000001E76C: D1CB0076 84D48176
	v_fma_f32 v119, v119, s64, -v53                            // 00000001E774: D1CB0077 84D48177
	v_fma_f32 v120, v120, s64, -v53                            // 00000001E77C: D1CB0078 84D48178
	v_fma_f32 v121, v121, s64, -v53                            // 00000001E784: D1CB0079 84D48179
	v_fma_f32 v122, v122, s64, -v53                            // 00000001E78C: D1CB007A 84D4817A
	v_fma_f32 v123, v123, s64, -v53                            // 00000001E794: D1CB007B 84D4817B
	v_fma_f32 v124, v124, s64, -v53                            // 00000001E79C: D1CB007C 84D4817C
	v_fma_f32 v125, v125, s64, -v53                            // 00000001E7A4: D1CB007D 84D4817D
	v_fma_f32 v126, v126, s64, -v53                            // 00000001E7AC: D1CB007E 84D4817E
	v_fma_f32 v127, v127, s64, -v53                            // 00000001E7B4: D1CB007F 84D4817F
	buffer_load_dwordx4 a[100:103], v35, s[20:23], 0 offen     // 00000001E7BC: E05C1000 80856423
	v_exp_f32_e32 v112, v112                                   // 00000001E7C4: 7EE04170
	v_exp_f32_e32 v113, v113                                   // 00000001E7C8: 7EE24171
	v_exp_f32_e32 v114, v114                                   // 00000001E7CC: 7EE44172
	v_exp_f32_e32 v115, v115                                   // 00000001E7D0: 7EE64173
	v_exp_f32_e32 v116, v116                                   // 00000001E7D4: 7EE84174
	v_exp_f32_e32 v117, v117                                   // 00000001E7D8: 7EEA4175
	v_exp_f32_e32 v118, v118                                   // 00000001E7DC: 7EEC4176
	v_exp_f32_e32 v119, v119                                   // 00000001E7E0: 7EEE4177
	v_exp_f32_e32 v120, v120                                   // 00000001E7E4: 7EF04178
	v_exp_f32_e32 v121, v121                                   // 00000001E7E8: 7EF24179
	v_exp_f32_e32 v122, v122                                   // 00000001E7EC: 7EF4417A
	v_exp_f32_e32 v123, v123                                   // 00000001E7F0: 7EF6417B
	v_exp_f32_e32 v124, v124                                   // 00000001E7F4: 7EF8417C
	v_exp_f32_e32 v125, v125                                   // 00000001E7F8: 7EFA417D
	v_exp_f32_e32 v126, v126                                   // 00000001E7FC: 7EFC417E
	v_exp_f32_e32 v127, v127                                   // 00000001E800: 7EFE417F
	buffer_load_dwordx4 a[104:107], v36, s[20:23], 0 offen     // 00000001E804: E05C1000 80856824
	v_mul_f32_dpp v240, v252, v112 quad_perm:[0,0,0,0] row_mask:0xf bank_mask:0xf// 00000001E80C: 0BE0E0FA FF0000FC
	v_mul_f32_dpp v241, v252, v113 quad_perm:[1,1,1,1] row_mask:0xf bank_mask:0xf// 00000001E814: 0BE2E2FA FF0055FC
	v_mul_f32_dpp v242, v252, v114 quad_perm:[2,2,2,2] row_mask:0xf bank_mask:0xf// 00000001E81C: 0BE4E4FA FF00AAFC
	v_mul_f32_dpp v243, v252, v115 quad_perm:[3,3,3,3] row_mask:0xf bank_mask:0xf// 00000001E824: 0BE6E6FA FF00FFFC
	v_mul_f32_dpp v244, v253, v116 quad_perm:[0,0,0,0] row_mask:0xf bank_mask:0xf// 00000001E82C: 0BE8E8FA FF0000FD
	v_mul_f32_dpp v245, v253, v117 quad_perm:[1,1,1,1] row_mask:0xf bank_mask:0xf// 00000001E834: 0BEAEAFA FF0055FD
	v_mul_f32_dpp v246, v253, v118 quad_perm:[2,2,2,2] row_mask:0xf bank_mask:0xf// 00000001E83C: 0BECECFA FF00AAFD
	v_mul_f32_dpp v247, v253, v119 quad_perm:[3,3,3,3] row_mask:0xf bank_mask:0xf// 00000001E844: 0BEEEEFA FF00FFFD
	v_mul_f32_dpp v248, v254, v120 quad_perm:[0,0,0,0] row_mask:0xf bank_mask:0xf// 00000001E84C: 0BF0F0FA FF0000FE
	v_mul_f32_dpp v249, v254, v121 quad_perm:[1,1,1,1] row_mask:0xf bank_mask:0xf// 00000001E854: 0BF2F2FA FF0055FE
	v_mul_f32_dpp v250, v254, v122 quad_perm:[2,2,2,2] row_mask:0xf bank_mask:0xf// 00000001E85C: 0BF4F4FA FF00AAFE
	v_mul_f32_dpp v251, v254, v123 quad_perm:[3,3,3,3] row_mask:0xf bank_mask:0xf// 00000001E864: 0BF6F6FA FF00FFFE
	v_mul_f32_dpp v252, v255, v124 quad_perm:[0,0,0,0] row_mask:0xf bank_mask:0xf// 00000001E86C: 0BF8F8FA FF0000FF
	v_mul_f32_dpp v253, v255, v125 quad_perm:[1,1,1,1] row_mask:0xf bank_mask:0xf// 00000001E874: 0BFAFAFA FF0055FF
	v_mul_f32_dpp v254, v255, v126 quad_perm:[2,2,2,2] row_mask:0xf bank_mask:0xf// 00000001E87C: 0BFCFCFA FF00AAFF
	v_mul_f32_dpp v255, v255, v127 quad_perm:[3,3,3,3] row_mask:0xf bank_mask:0xf// 00000001E884: 0BFEFEFA FF00FFFF
	v_mov_b32_e32 v48, 0x358637bd                              // 00000001E88C: 7E6002FF 358637BD
	v_max3_f32 v48, |v240|, |v241|, v48                        // 00000001E894: D1D30330 04C3E3F0
	v_max3_f32 v48, |v242|, |v243|, v48                        // 00000001E89C: D1D30330 04C3E7F2
	v_max3_f32 v48, |v244|, |v245|, v48                        // 00000001E8A4: D1D30330 04C3EBF4
	v_max3_f32 v48, |v246|, |v247|, v48                        // 00000001E8AC: D1D30330 04C3EFF6
	v_max3_f32 v48, |v248|, |v249|, v48                        // 00000001E8B4: D1D30330 04C3F3F8
	v_max3_f32 v48, |v250|, |v251|, v48                        // 00000001E8BC: D1D30330 04C3F7FA
	v_max3_f32 v48, |v252|, |v253|, v48                        // 00000001E8C4: D1D30330 04C3FBFC
	v_max3_f32 v48, |v254|, |v255|, v48                        // 00000001E8CC: D1D30330 04C3FFFE
	buffer_load_dwordx4 a[108:111], v37, s[20:23], 0 offen     // 00000001E8D4: E05C1000 80856C25
	ds_write_b32 v8, v48 offset:20992                          // 00000001E8DC: D81A5200 00003008
	v_sub_f32_e32 v49, v11, v15                                // 00000001E8E4: 04621F0B
	v_cndmask_b32_e64 v49, v49, 0, s[40:41]                    // 00000001E8E8: D1000031 00A10131
	v_mov_b32_e32 v11, v15                                     // 00000001E8F0: 7E16030F
	v_mul_f32_e32 v49, s64, v49                                // 00000001E8F4: 0A626240
	v_exp_f32_e32 v49, v49                                     // 00000001E8F8: 7E624131
	s_waitcnt lgkmcnt(0)                                       // 00000001E8FC: BF8CC07F
	s_barrier                                                  // 00000001E900: BF8A0000
	ds_read_b32 v64, v7 offset:20992                           // 00000001E904: D86C5200 40000007
	ds_read_b32 v65, v7 offset:21056                           // 00000001E90C: D86C5240 41000007
	ds_read_b32 v66, v7 offset:21120                           // 00000001E914: D86C5280 42000007
	ds_read_b32 v67, v7 offset:21184                           // 00000001E91C: D86C52C0 43000007
	ds_read_b32 v68, v7 offset:21248                           // 00000001E924: D86C5300 44000007
	ds_read_b32 v69, v7 offset:21312                           // 00000001E92C: D86C5340 45000007
	ds_read_b32 v70, v7 offset:21376                           // 00000001E934: D86C5380 46000007
	ds_read_b32 v71, v7 offset:21440                           // 00000001E93C: D86C53C0 47000007
	ds_read_b32 v72, v7 offset:21504                           // 00000001E944: D86C5400 48000007
	ds_read_b32 v73, v7 offset:21568                           // 00000001E94C: D86C5440 49000007
	ds_read_b32 v74, v7 offset:21632                           // 00000001E954: D86C5480 4A000007
	ds_read_b32 v75, v7 offset:21696                           // 00000001E95C: D86C54C0 4B000007
	ds_read_b32 v76, v7 offset:21760                           // 00000001E964: D86C5500 4C000007
	ds_read_b32 v77, v7 offset:21824                           // 00000001E96C: D86C5540 4D000007
	ds_read_b32 v78, v7 offset:21888                           // 00000001E974: D86C5580 4E000007
	ds_read_b32 v79, v7 offset:21952                           // 00000001E97C: D86C55C0 4F000007
	v_mul_f32_e32 v38, v49, v38                                // 00000001E984: 0A4C4D31
	v_mov_b32_e32 v15, v112                                    // 00000001E988: 7E1E0370
	v_add_f32_e32 v15, v113, v15                               // 00000001E98C: 021E1F71
	v_add_f32_e32 v15, v114, v15                               // 00000001E990: 021E1F72
	v_add_f32_e32 v15, v115, v15                               // 00000001E994: 021E1F73
	v_add_f32_e32 v15, v116, v15                               // 00000001E998: 021E1F74
	v_add_f32_e32 v15, v117, v15                               // 00000001E99C: 021E1F75
	v_add_f32_e32 v15, v118, v15                               // 00000001E9A0: 021E1F76
	v_add_f32_e32 v15, v119, v15                               // 00000001E9A4: 021E1F77
	v_add_f32_e32 v15, v120, v15                               // 00000001E9A8: 021E1F78
	v_add_f32_e32 v15, v121, v15                               // 00000001E9AC: 021E1F79
	v_add_f32_e32 v15, v122, v15                               // 00000001E9B0: 021E1F7A
	v_add_f32_e32 v15, v123, v15                               // 00000001E9B4: 021E1F7B
	v_add_f32_e32 v15, v124, v15                               // 00000001E9B8: 021E1F7C
	v_add_f32_e32 v15, v125, v15                               // 00000001E9BC: 021E1F7D
	v_add_f32_e32 v15, v126, v15                               // 00000001E9C0: 021E1F7E
	v_add_f32_e32 v15, v127, v15                               // 00000001E9C4: 021E1F7F
	v_add_f32_e32 v38, v15, v38                                // 00000001E9C8: 024C4D0F
	s_waitcnt lgkmcnt(0)                                       // 00000001E9CC: BF8CC07F
	v_max3_f32 v48, |v64|, |v65|, v48                          // 00000001E9D0: D1D30330 04C28340
	v_max3_f32 v48, |v66|, |v67|, v48                          // 00000001E9D8: D1D30330 04C28742
	v_max3_f32 v48, |v68|, |v69|, v48                          // 00000001E9E0: D1D30330 04C28B44
	v_max3_f32 v48, |v70|, |v71|, v48                          // 00000001E9E8: D1D30330 04C28F46
	v_max3_f32 v48, |v72|, |v73|, v48                          // 00000001E9F0: D1D30330 04C29348
	v_max3_f32 v48, |v74|, |v75|, v48                          // 00000001E9F8: D1D30330 04C2974A
	v_max3_f32 v48, |v76|, |v77|, v48                          // 00000001EA00: D1D30330 04C29B4C
	v_max3_f32 v48, |v78|, |v79|, v48                          // 00000001EA08: D1D30330 04C29F4E
	s_nop 2                                                    // 00000001EA10: BF800002
	v_rcp_f32_e32 v48, v48                                     // 00000001EA14: 7E604530
	s_nop 1                                                    // 00000001EA18: BF800001
	v_mul_f32_e32 v48, 0x43e00000, v48                         // 00000001EA1C: 0A6060FF 43E00000
	v_mul_f32_e32 v112, v48, v240                              // 00000001EA24: 0AE1E130
	v_mul_f32_e32 v113, v48, v241                              // 00000001EA28: 0AE3E330
	v_mul_f32_e32 v114, v48, v242                              // 00000001EA2C: 0AE5E530
	v_mul_f32_e32 v115, v48, v243                              // 00000001EA30: 0AE7E730
	v_mul_f32_e32 v116, v48, v244                              // 00000001EA34: 0AE9E930
	v_mul_f32_e32 v117, v48, v245                              // 00000001EA38: 0AEBEB30
	v_mul_f32_e32 v118, v48, v246                              // 00000001EA3C: 0AEDED30
	v_mul_f32_e32 v119, v48, v247                              // 00000001EA40: 0AEFEF30
	v_mul_f32_e32 v120, v48, v248                              // 00000001EA44: 0AF1F130
	v_mul_f32_e32 v121, v48, v249                              // 00000001EA48: 0AF3F330
	v_mul_f32_e32 v122, v48, v250                              // 00000001EA4C: 0AF5F530
	v_mul_f32_e32 v123, v48, v251                              // 00000001EA50: 0AF7F730
	v_mul_f32_e32 v124, v48, v252                              // 00000001EA54: 0AF9F930
	v_mul_f32_e32 v125, v48, v253                              // 00000001EA58: 0AFBFB30
	v_mul_f32_e32 v126, v48, v254                              // 00000001EA5C: 0AFDFD30
	v_mul_f32_e32 v127, v48, v255                              // 00000001EA60: 0AFFFF30
	v_cvt_pk_fp8_f32 v112, v112, v113                          // 00000001EA64: D2A20070 0002E370
	v_cvt_pk_fp8_f32 v112, v114, v115 op_sel:[0,0,1]           // 00000001EA6C: D2A24070 0002E772
	v_cvt_pk_fp8_f32 v113, v116, v117                          // 00000001EA74: D2A20071 0002EB74
	v_cvt_pk_fp8_f32 v113, v118, v119 op_sel:[0,0,1]           // 00000001EA7C: D2A24071 0002EF76
	v_cvt_pk_fp8_f32 v114, v120, v121                          // 00000001EA84: D2A20072 0002F378
	v_cvt_pk_fp8_f32 v114, v122, v123 op_sel:[0,0,1]           // 00000001EA8C: D2A24072 0002F77A
	v_cvt_pk_fp8_f32 v115, v124, v125                          // 00000001EA94: D2A20073 0002FB7C
	v_cvt_pk_fp8_f32 v115, v126, v127 op_sel:[0,0,1]           // 00000001EA9C: D2A24073 0002FF7E
	ds_write_b32 v10, v112 offset:25088                        // 00000001EAA4: D81A6200 0000700A
	ds_write_b32 v10, v113 offset:26112                        // 00000001EAAC: D81A6600 0000710A
	ds_write_b32 v10, v114 offset:27136                        // 00000001EAB4: D81A6A00 0000720A
	ds_write_b32 v10, v115 offset:28160                        // 00000001EABC: D81A6E00 0000730A
	v_add_f32_e32 v208, v208, v176                             // 00000001EAC4: 03A161D0
	v_add_f32_e32 v209, v209, v177                             // 00000001EAC8: 03A363D1
	v_add_f32_e32 v210, v210, v178                             // 00000001EACC: 03A565D2
	v_add_f32_e32 v211, v211, v179                             // 00000001EAD0: 03A767D3
	v_add_f32_e32 v212, v212, v180                             // 00000001EAD4: 03A969D4
	v_add_f32_e32 v213, v213, v181                             // 00000001EAD8: 03AB6BD5
	v_add_f32_e32 v214, v214, v182                             // 00000001EADC: 03AD6DD6
	v_add_f32_e32 v215, v215, v183                             // 00000001EAE0: 03AF6FD7
	v_rcp_f32_e32 v44, v48                                     // 00000001EAE4: 7E584530
	s_waitcnt lgkmcnt(0)                                       // 00000001EAE8: BF8CC07F
	s_barrier                                                  // 00000001EAEC: BF8A0000
	ds_read_b64 v[112:113], v9 offset:25088                    // 00000001EAF0: D8EC6200 70000009
	ds_read_b64 v[114:115], v9 offset:25216                    // 00000001EAF8: D8EC6280 72000009
	ds_read_b64 v[116:117], v9 offset:26112                    // 00000001EB00: D8EC6600 74000009
	ds_read_b64 v[118:119], v9 offset:26240                    // 00000001EB08: D8EC6680 76000009
	ds_read_b64 v[120:121], v9 offset:27136                    // 00000001EB10: D8EC6A00 78000009
	ds_read_b64 v[122:123], v9 offset:27264                    // 00000001EB18: D8EC6A80 7A000009
	ds_read_b64 v[124:125], v9 offset:28160                    // 00000001EB20: D8EC6E00 7C000009
	ds_read_b64 v[126:127], v9 offset:28288                    // 00000001EB28: D8EC6E80 7E000009
	v_mov_b32_dpp v64, v42 row_shr:4 row_mask:0xf bank_mask:0xf// 00000001EB30: 7E8002FA FF01142A
	v_mov_b32_dpp v65, v42 row_shl:4 row_mask:0xf bank_mask:0xf// 00000001EB38: 7E8202FA FF01042A
	v_cndmask_b32_e64 v248, v42, v64, s[44:45]                 // 00000001EB40: D10000F8 00B2812A
	v_cndmask_b32_e64 v249, v65, v42, s[44:45]                 // 00000001EB48: D10000F9 00B25541
	v_mov_b32_dpp v64, v248 row_shr:8 row_mask:0xf bank_mask:0xf// 00000001EB50: 7E8002FA FF0118F8
	v_mov_b32_dpp v65, v248 row_shl:8 row_mask:0xf bank_mask:0xf// 00000001EB58: 7E8202FA FF0108F8
	v_mov_b32_dpp v66, v249 row_shr:8 row_mask:0xf bank_mask:0xf// 00000001EB60: 7E8402FA FF0118F9
	v_mov_b32_dpp v67, v249 row_shl:8 row_mask:0xf bank_mask:0xf// 00000001EB68: 7E8602FA FF0108F9
	v_mov_b32_e32 v68, v248                                    // 00000001EB70: 7E8803F8
	v_mov_b32_e32 v69, v249                                    // 00000001EB74: 7E8A03F9
	v_cndmask_b32_e64 v248, v68, v64, s[42:43]                 // 00000001EB78: D10000F8 00AA8144
	v_cndmask_b32_e64 v250, v68, v65, s[78:79]                 // 00000001EB80: D10000FA 013A8344
	v_cndmask_b32_e64 v249, v69, v66, s[42:43]                 // 00000001EB88: D10000F9 00AA8545
	v_cndmask_b32_e64 v251, v69, v67, s[78:79]                 // 00000001EB90: D10000FB 013A8745
	v_mov_b32_dpp v64, v57 row_shr:4 row_mask:0xf bank_mask:0xf// 00000001EB98: 7E8002FA FF011439
	v_mov_b32_dpp v65, v57 row_shl:4 row_mask:0xf bank_mask:0xf// 00000001EBA0: 7E8202FA FF010439
	v_cndmask_b32_e64 v252, v57, v64, s[44:45]                 // 00000001EBA8: D10000FC 00B28139
	v_cndmask_b32_e64 v253, v65, v57, s[44:45]                 // 00000001EBB0: D10000FD 00B27341
	v_mov_b32_dpp v64, v252 row_shr:8 row_mask:0xf bank_mask:0xf// 00000001EBB8: 7E8002FA FF0118FC
	v_mov_b32_dpp v65, v252 row_shl:8 row_mask:0xf bank_mask:0xf// 00000001EBC0: 7E8202FA FF0108FC
	v_mov_b32_dpp v66, v253 row_shr:8 row_mask:0xf bank_mask:0xf// 00000001EBC8: 7E8402FA FF0118FD
	v_mov_b32_dpp v67, v253 row_shl:8 row_mask:0xf bank_mask:0xf// 00000001EBD0: 7E8602FA FF0108FD
	v_mov_b32_e32 v68, v252                                    // 00000001EBD8: 7E8803FC
	v_mov_b32_e32 v69, v253                                    // 00000001EBDC: 7E8A03FD
	v_cndmask_b32_e64 v252, v68, v64, s[42:43]                 // 00000001EBE0: D10000FC 00AA8144
	v_cndmask_b32_e64 v254, v68, v65, s[78:79]                 // 00000001EBE8: D10000FE 013A8344
	v_cndmask_b32_e64 v253, v69, v66, s[42:43]                 // 00000001EBF0: D10000FD 00AA8545
	v_cndmask_b32_e64 v255, v69, v67, s[78:79]                 // 00000001EBF8: D10000FF 013A8745
	v_mul_f32_e32 v128, v19, v128                              // 00000001EC00: 0B010113
	v_mul_f32_e32 v129, v19, v129                              // 00000001EC04: 0B030313
	v_mul_f32_e32 v130, v19, v130                              // 00000001EC08: 0B050513
	v_mul_f32_e32 v131, v19, v131                              // 00000001EC0C: 0B070713
	v_mul_f32_e32 v132, v19, v132                              // 00000001EC10: 0B090913
	v_mul_f32_e32 v133, v19, v133                              // 00000001EC14: 0B0B0B13
	v_mul_f32_e32 v134, v19, v134                              // 00000001EC18: 0B0D0D13
	v_mul_f32_e32 v135, v19, v135                              // 00000001EC1C: 0B0F0F13
	v_mul_f32_e32 v136, v19, v136                              // 00000001EC20: 0B111113
	v_mul_f32_e32 v137, v19, v137                              // 00000001EC24: 0B131313
	v_mul_f32_e32 v138, v19, v138                              // 00000001EC28: 0B151513
	v_mul_f32_e32 v139, v19, v139                              // 00000001EC2C: 0B171713
	v_mul_f32_e32 v140, v19, v140                              // 00000001EC30: 0B191913
	v_mul_f32_e32 v141, v19, v141                              // 00000001EC34: 0B1B1B13
	v_mul_f32_e32 v142, v19, v142                              // 00000001EC38: 0B1D1D13
	v_mul_f32_e32 v143, v19, v143                              // 00000001EC3C: 0B1F1F13
	v_mul_f32_dpp v128, v248, v128 quad_perm:[0,0,0,0] row_mask:0xf bank_mask:0xf// 00000001EC40: 0B0100FA FF0000F8
	v_mul_f32_dpp v129, v248, v129 quad_perm:[1,1,1,1] row_mask:0xf bank_mask:0xf// 00000001EC48: 0B0302FA FF0055F8
	v_mul_f32_dpp v130, v248, v130 quad_perm:[2,2,2,2] row_mask:0xf bank_mask:0xf// 00000001EC50: 0B0504FA FF00AAF8
	v_mul_f32_dpp v131, v248, v131 quad_perm:[3,3,3,3] row_mask:0xf bank_mask:0xf// 00000001EC58: 0B0706FA FF00FFF8
	v_mul_f32_dpp v132, v249, v132 quad_perm:[0,0,0,0] row_mask:0xf bank_mask:0xf// 00000001EC60: 0B0908FA FF0000F9
	v_mul_f32_dpp v133, v249, v133 quad_perm:[1,1,1,1] row_mask:0xf bank_mask:0xf// 00000001EC68: 0B0B0AFA FF0055F9
	v_mul_f32_dpp v134, v249, v134 quad_perm:[2,2,2,2] row_mask:0xf bank_mask:0xf// 00000001EC70: 0B0D0CFA FF00AAF9
	v_mul_f32_dpp v135, v249, v135 quad_perm:[3,3,3,3] row_mask:0xf bank_mask:0xf// 00000001EC78: 0B0F0EFA FF00FFF9
	v_mul_f32_dpp v136, v250, v136 quad_perm:[0,0,0,0] row_mask:0xf bank_mask:0xf// 00000001EC80: 0B1110FA FF0000FA
	v_mul_f32_dpp v137, v250, v137 quad_perm:[1,1,1,1] row_mask:0xf bank_mask:0xf// 00000001EC88: 0B1312FA FF0055FA
	v_mul_f32_dpp v138, v250, v138 quad_perm:[2,2,2,2] row_mask:0xf bank_mask:0xf// 00000001EC90: 0B1514FA FF00AAFA
	v_mul_f32_dpp v139, v250, v139 quad_perm:[3,3,3,3] row_mask:0xf bank_mask:0xf// 00000001EC98: 0B1716FA FF00FFFA
	v_mul_f32_dpp v140, v251, v140 quad_perm:[0,0,0,0] row_mask:0xf bank_mask:0xf// 00000001ECA0: 0B1918FA FF0000FB
	v_mul_f32_dpp v141, v251, v141 quad_perm:[1,1,1,1] row_mask:0xf bank_mask:0xf// 00000001ECA8: 0B1B1AFA FF0055FB
	v_mul_f32_dpp v142, v251, v142 quad_perm:[2,2,2,2] row_mask:0xf bank_mask:0xf// 00000001ECB0: 0B1D1CFA FF00AAFB
	v_mul_f32_dpp v143, v251, v143 quad_perm:[3,3,3,3] row_mask:0xf bank_mask:0xf// 00000001ECB8: 0B1F1EFA FF00FFFB
	s_cmp_le_i32 s90, s89                                      // 00000001ECC0: BF05595A
	s_cbranch_scc1 label_7323                                  // 00000001ECC4: BF850071
	v_mov_b32_e32 v66, 0xff800000                              // 00000001ECC8: 7E8402FF FF800000
	s_mov_b32 s60, s90                                         // 00000001ECD0: BEBC005A
	s_add_u32 s61, s89, 0xff                                   // 00000001ECD4: 803DFF59 000000FF
	v_mov_b32_e32 v64, s61                                     // 00000001ECDC: 7E80023D
	v_lshrrev_b32_e32 v240, 4, v0                              // 00000001ECE0: 21E00084
	v_mul_i32_i24_e32 v240, 4, v240                            // 00000001ECE4: 0DE1E084
	v_add_u32_e32 v240, s60, v240                              // 00000001ECE8: 69E1E03C
	s_mov_b32 s61, 1                                           // 00000001ECEC: BEBD0081
	s_mul_i32 s60, 16, s7                                      // 00000001ECF0: 923C0790
	v_sub_u32_e64 v240, v240, s61                              // 00000001ECF4: D13500F0 00007BF0
	v_add_u32_e32 v240, s60, v240                              // 00000001ECFC: 69E1E03C
	v_add_u32_e32 v241, 1, v240                                // 00000001ED00: 69E3E081
	v_add_u32_e32 v242, 2, v240                                // 00000001ED04: 69E5E082
	v_add_u32_e32 v243, 3, v240                                // 00000001ED08: 69E7E083
	v_cmp_le_u32_e64 s[40:41], v240, v64                       // 00000001ED0C: D0CB0028 000281F0
	v_add_u32_e32 v240, 64, v240                               // 00000001ED14: 69E1E0C0
	s_nop 0                                                    // 00000001ED18: BF800000
	v_cndmask_b32_e64 v128, v66, v128, s[40:41]                // 00000001ED1C: D1000080 00A30142
	v_cmp_le_u32_e64 s[40:41], v241, v64                       // 00000001ED24: D0CB0028 000281F1
	v_add_u32_e32 v241, 64, v241                               // 00000001ED2C: 69E3E2C0
	s_nop 0                                                    // 00000001ED30: BF800000
	v_cndmask_b32_e64 v129, v66, v129, s[40:41]                // 00000001ED34: D1000081 00A30342
	v_cmp_le_u32_e64 s[40:41], v242, v64                       // 00000001ED3C: D0CB0028 000281F2
	v_add_u32_e32 v242, 64, v242                               // 00000001ED44: 69E5E4C0
	s_nop 0                                                    // 00000001ED48: BF800000
	v_cndmask_b32_e64 v130, v66, v130, s[40:41]                // 00000001ED4C: D1000082 00A30542
	v_cmp_le_u32_e64 s[40:41], v243, v64                       // 00000001ED54: D0CB0028 000281F3
	v_add_u32_e32 v243, 64, v243                               // 00000001ED5C: 69E7E6C0
	s_nop 0                                                    // 00000001ED60: BF800000
	v_cndmask_b32_e64 v131, v66, v131, s[40:41]                // 00000001ED64: D1000083 00A30742
	v_cmp_le_u32_e64 s[40:41], v240, v64                       // 00000001ED6C: D0CB0028 000281F0
	v_add_u32_e32 v240, 64, v240                               // 00000001ED74: 69E1E0C0
	s_nop 0                                                    // 00000001ED78: BF800000
	v_cndmask_b32_e64 v132, v66, v132, s[40:41]                // 00000001ED7C: D1000084 00A30942
	v_cmp_le_u32_e64 s[40:41], v241, v64                       // 00000001ED84: D0CB0028 000281F1
	v_add_u32_e32 v241, 64, v241                               // 00000001ED8C: 69E3E2C0
	s_nop 0                                                    // 00000001ED90: BF800000
	v_cndmask_b32_e64 v133, v66, v133, s[40:41]                // 00000001ED94: D1000085 00A30B42
	v_cmp_le_u32_e64 s[40:41], v242, v64                       // 00000001ED9C: D0CB0028 000281F2
	v_add_u32_e32 v242, 64, v242                               // 00000001EDA4: 69E5E4C0
	s_nop 0                                                    // 00000001EDA8: BF800000
	v_cndmask_b32_e64 v134, v66, v134, s[40:41]                // 00000001EDAC: D1000086 00A30D42
	v_cmp_le_u32_e64 s[40:41], v243, v64                       // 00000001EDB4: D0CB0028 000281F3
	v_add_u32_e32 v243, 64, v243                               // 00000001EDBC: 69E7E6C0
	s_nop 0                                                    // 00000001EDC0: BF800000
	v_cndmask_b32_e64 v135, v66, v135, s[40:41]                // 00000001EDC4: D1000087 00A30F42
	v_cmp_le_u32_e64 s[40:41], v240, v64                       // 00000001EDCC: D0CB0028 000281F0
	v_add_u32_e32 v240, 64, v240                               // 00000001EDD4: 69E1E0C0
	s_nop 0                                                    // 00000001EDD8: BF800000
	v_cndmask_b32_e64 v136, v66, v136, s[40:41]                // 00000001EDDC: D1000088 00A31142
	v_cmp_le_u32_e64 s[40:41], v241, v64                       // 00000001EDE4: D0CB0028 000281F1
	v_add_u32_e32 v241, 64, v241                               // 00000001EDEC: 69E3E2C0
	s_nop 0                                                    // 00000001EDF0: BF800000
	v_cndmask_b32_e64 v137, v66, v137, s[40:41]                // 00000001EDF4: D1000089 00A31342
	v_cmp_le_u32_e64 s[40:41], v242, v64                       // 00000001EDFC: D0CB0028 000281F2
	v_add_u32_e32 v242, 64, v242                               // 00000001EE04: 69E5E4C0
	s_nop 0                                                    // 00000001EE08: BF800000
	v_cndmask_b32_e64 v138, v66, v138, s[40:41]                // 00000001EE0C: D100008A 00A31542
	v_cmp_le_u32_e64 s[40:41], v243, v64                       // 00000001EE14: D0CB0028 000281F3
	v_add_u32_e32 v243, 64, v243                               // 00000001EE1C: 69E7E6C0
	s_nop 0                                                    // 00000001EE20: BF800000
	v_cndmask_b32_e64 v139, v66, v139, s[40:41]                // 00000001EE24: D100008B 00A31742
	v_cmp_le_u32_e64 s[40:41], v240, v64                       // 00000001EE2C: D0CB0028 000281F0
	v_add_u32_e32 v240, 64, v240                               // 00000001EE34: 69E1E0C0
	s_nop 0                                                    // 00000001EE38: BF800000
	v_cndmask_b32_e64 v140, v66, v140, s[40:41]                // 00000001EE3C: D100008C 00A31942
	v_cmp_le_u32_e64 s[40:41], v241, v64                       // 00000001EE44: D0CB0028 000281F1
	v_add_u32_e32 v241, 64, v241                               // 00000001EE4C: 69E3E2C0
	s_nop 0                                                    // 00000001EE50: BF800000
	v_cndmask_b32_e64 v141, v66, v141, s[40:41]                // 00000001EE54: D100008D 00A31B42
	v_cmp_le_u32_e64 s[40:41], v242, v64                       // 00000001EE5C: D0CB0028 000281F2
	v_add_u32_e32 v242, 64, v242                               // 00000001EE64: 69E5E4C0
	s_nop 0                                                    // 00000001EE68: BF800000
	v_cndmask_b32_e64 v142, v66, v142, s[40:41]                // 00000001EE6C: D100008E 00A31D42
	v_cmp_le_u32_e64 s[40:41], v243, v64                       // 00000001EE74: D0CB0028 000281F3
	v_add_u32_e32 v243, 64, v243                               // 00000001EE7C: 69E7E6C0
	s_nop 0                                                    // 00000001EE80: BF800000
	v_cndmask_b32_e64 v143, v66, v143, s[40:41]                // 00000001EE84: D100008F 00A31F42

000000000001ee8c <label_7323>:
	v_mov_b32_e32 v48, v128                                    // 00000001EE8C: 7E600380
	v_max3_f32 v48, v128, v129, v48                            // 00000001EE90: D1D30030 04C30380
	v_max3_f32 v48, v130, v131, v48                            // 00000001EE98: D1D30030 04C30782
	v_max3_f32 v48, v132, v133, v48                            // 00000001EEA0: D1D30030 04C30B84
	v_max3_f32 v48, v134, v135, v48                            // 00000001EEA8: D1D30030 04C30F86
	v_max3_f32 v48, v136, v137, v48                            // 00000001EEB0: D1D30030 04C31388
	v_max3_f32 v48, v138, v139, v48                            // 00000001EEB8: D1D30030 04C3178A
	v_max3_f32 v48, v140, v141, v48                            // 00000001EEC0: D1D30030 04C31B8C
	v_max3_f32 v48, v142, v143, v48                            // 00000001EEC8: D1D30030 04C31F8E
	ds_write_b32 v8, v48 offset:16896                          // 00000001EED0: D81A4200 00003008
	v_mul_f32_e32 v216, v50, v216                              // 00000001EED8: 0BB1B132
	v_mul_f32_e32 v217, v50, v217                              // 00000001EEDC: 0BB3B332
	v_mul_f32_e32 v218, v50, v218                              // 00000001EEE0: 0BB5B532
	v_mul_f32_e32 v219, v50, v219                              // 00000001EEE4: 0BB7B732
	v_mul_f32_e32 v220, v50, v220                              // 00000001EEE8: 0BB9B932
	v_mul_f32_e32 v221, v50, v221                              // 00000001EEEC: 0BBBBB32
	v_mul_f32_e32 v222, v50, v222                              // 00000001EEF0: 0BBDBD32
	v_mul_f32_e32 v223, v50, v223                              // 00000001EEF4: 0BBFBF32
	s_waitcnt lgkmcnt(0)                                       // 00000001EEF8: BF8CC07F
	s_barrier                                                  // 00000001EEFC: BF8A0000
	ds_read_b32 v64, v7 offset:16896                           // 00000001EF00: D86C4200 40000007
	ds_read_b32 v65, v7 offset:16960                           // 00000001EF08: D86C4240 41000007
	ds_read_b32 v66, v7 offset:17024                           // 00000001EF10: D86C4280 42000007
	ds_read_b32 v67, v7 offset:17088                           // 00000001EF18: D86C42C0 43000007
	ds_read_b32 v68, v7 offset:17152                           // 00000001EF20: D86C4300 44000007
	ds_read_b32 v69, v7 offset:17216                           // 00000001EF28: D86C4340 45000007
	ds_read_b32 v70, v7 offset:17280                           // 00000001EF30: D86C4380 46000007
	ds_read_b32 v71, v7 offset:17344                           // 00000001EF38: D86C43C0 47000007
	ds_read_b32 v72, v7 offset:17408                           // 00000001EF40: D86C4400 48000007
	ds_read_b32 v73, v7 offset:17472                           // 00000001EF48: D86C4440 49000007
	ds_read_b32 v74, v7 offset:17536                           // 00000001EF50: D86C4480 4A000007
	ds_read_b32 v75, v7 offset:17600                           // 00000001EF58: D86C44C0 4B000007
	ds_read_b32 v76, v7 offset:17664                           // 00000001EF60: D86C4500 4C000007
	ds_read_b32 v77, v7 offset:17728                           // 00000001EF68: D86C4540 4D000007
	ds_read_b32 v78, v7 offset:17792                           // 00000001EF70: D86C4580 4E000007
	ds_read_b32 v79, v7 offset:17856                           // 00000001EF78: D86C45C0 4F000007
	v_mul_f32_e32 v184, v45, v184                              // 00000001EF80: 0B71712D
	v_mul_f32_e32 v185, v45, v185                              // 00000001EF84: 0B73732D
	v_mul_f32_e32 v186, v45, v186                              // 00000001EF88: 0B75752D
	v_mul_f32_e32 v187, v45, v187                              // 00000001EF8C: 0B77772D
	v_mul_f32_e32 v188, v45, v188                              // 00000001EF90: 0B79792D
	v_mul_f32_e32 v189, v45, v189                              // 00000001EF94: 0B7B7B2D
	v_mul_f32_e32 v190, v45, v190                              // 00000001EF98: 0B7D7D2D
	v_mul_f32_e32 v191, v45, v191                              // 00000001EF9C: 0B7F7F2D
	s_waitcnt lgkmcnt(0)                                       // 00000001EFA0: BF8CC07F
	v_max3_f32 v48, v64, v65, v48                              // 00000001EFA4: D1D30030 04C28340
	v_max3_f32 v48, v66, v67, v48                              // 00000001EFAC: D1D30030 04C28742
	v_max3_f32 v48, v68, v69, v48                              // 00000001EFB4: D1D30030 04C28B44
	v_max3_f32 v48, v70, v71, v48                              // 00000001EFBC: D1D30030 04C28F46
	v_max3_f32 v48, v72, v73, v48                              // 00000001EFC4: D1D30030 04C29348
	v_max3_f32 v48, v74, v75, v48                              // 00000001EFCC: D1D30030 04C2974A
	v_max3_f32 v48, v76, v77, v48                              // 00000001EFD4: D1D30030 04C29B4C
	v_max3_f32 v48, v78, v79, v48                              // 00000001EFDC: D1D30030 04C29F4E
	v_mov_b32_e32 v64, 0xff800000                              // 00000001EFE4: 7E8002FF FF800000
	v_cmp_eq_u32_e64 s[40:41], v64, v12                        // 00000001EFEC: D0CA0028 00021940
	s_nop 1                                                    // 00000001EFF4: BF800001
	v_max_f32_e32 v15, v48, v12                                // 00000001EFF8: 161E1930
	v_mul_f32_e32 v53, s64, v15                                // 00000001EFFC: 0A6A1E40
	v_fma_f32 v128, v128, s64, -v53                            // 00000001F000: D1CB0080 84D48180
	v_fma_f32 v129, v129, s64, -v53                            // 00000001F008: D1CB0081 84D48181
	v_fma_f32 v130, v130, s64, -v53                            // 00000001F010: D1CB0082 84D48182
	v_fma_f32 v131, v131, s64, -v53                            // 00000001F018: D1CB0083 84D48183
	v_fma_f32 v132, v132, s64, -v53                            // 00000001F020: D1CB0084 84D48184
	v_fma_f32 v133, v133, s64, -v53                            // 00000001F028: D1CB0085 84D48185
	v_fma_f32 v134, v134, s64, -v53                            // 00000001F030: D1CB0086 84D48186
	v_fma_f32 v135, v135, s64, -v53                            // 00000001F038: D1CB0087 84D48187
	v_fma_f32 v136, v136, s64, -v53                            // 00000001F040: D1CB0088 84D48188
	v_fma_f32 v137, v137, s64, -v53                            // 00000001F048: D1CB0089 84D48189
	v_fma_f32 v138, v138, s64, -v53                            // 00000001F050: D1CB008A 84D4818A
	v_fma_f32 v139, v139, s64, -v53                            // 00000001F058: D1CB008B 84D4818B
	v_fma_f32 v140, v140, s64, -v53                            // 00000001F060: D1CB008C 84D4818C
	v_fma_f32 v141, v141, s64, -v53                            // 00000001F068: D1CB008D 84D4818D
	v_fma_f32 v142, v142, s64, -v53                            // 00000001F070: D1CB008E 84D4818E
	v_fma_f32 v143, v143, s64, -v53                            // 00000001F078: D1CB008F 84D4818F
	v_exp_f32_e32 v128, v128                                   // 00000001F080: 7F004180
	v_exp_f32_e32 v129, v129                                   // 00000001F084: 7F024181
	v_exp_f32_e32 v130, v130                                   // 00000001F088: 7F044182
	v_exp_f32_e32 v131, v131                                   // 00000001F08C: 7F064183
	v_exp_f32_e32 v132, v132                                   // 00000001F090: 7F084184
	v_exp_f32_e32 v133, v133                                   // 00000001F094: 7F0A4185
	v_exp_f32_e32 v134, v134                                   // 00000001F098: 7F0C4186
	v_exp_f32_e32 v135, v135                                   // 00000001F09C: 7F0E4187
	v_exp_f32_e32 v136, v136                                   // 00000001F0A0: 7F104188
	v_exp_f32_e32 v137, v137                                   // 00000001F0A4: 7F124189
	v_exp_f32_e32 v138, v138                                   // 00000001F0A8: 7F14418A
	v_exp_f32_e32 v139, v139                                   // 00000001F0AC: 7F16418B
	v_exp_f32_e32 v140, v140                                   // 00000001F0B0: 7F18418C
	v_exp_f32_e32 v141, v141                                   // 00000001F0B4: 7F1A418D
	v_exp_f32_e32 v142, v142                                   // 00000001F0B8: 7F1C418E
	v_exp_f32_e32 v143, v143                                   // 00000001F0BC: 7F1E418F
	v_mul_f32_dpp v240, v252, v128 quad_perm:[0,0,0,0] row_mask:0xf bank_mask:0xf// 00000001F0C0: 0BE100FA FF0000FC
	v_mul_f32_dpp v241, v252, v129 quad_perm:[1,1,1,1] row_mask:0xf bank_mask:0xf// 00000001F0C8: 0BE302FA FF0055FC
	v_mul_f32_dpp v242, v252, v130 quad_perm:[2,2,2,2] row_mask:0xf bank_mask:0xf// 00000001F0D0: 0BE504FA FF00AAFC
	v_mul_f32_dpp v243, v252, v131 quad_perm:[3,3,3,3] row_mask:0xf bank_mask:0xf// 00000001F0D8: 0BE706FA FF00FFFC
	v_mul_f32_dpp v244, v253, v132 quad_perm:[0,0,0,0] row_mask:0xf bank_mask:0xf// 00000001F0E0: 0BE908FA FF0000FD
	v_mul_f32_dpp v245, v253, v133 quad_perm:[1,1,1,1] row_mask:0xf bank_mask:0xf// 00000001F0E8: 0BEB0AFA FF0055FD
	v_mul_f32_dpp v246, v253, v134 quad_perm:[2,2,2,2] row_mask:0xf bank_mask:0xf// 00000001F0F0: 0BED0CFA FF00AAFD
	v_mul_f32_dpp v247, v253, v135 quad_perm:[3,3,3,3] row_mask:0xf bank_mask:0xf// 00000001F0F8: 0BEF0EFA FF00FFFD
	v_mul_f32_dpp v248, v254, v136 quad_perm:[0,0,0,0] row_mask:0xf bank_mask:0xf// 00000001F100: 0BF110FA FF0000FE
	v_mul_f32_dpp v249, v254, v137 quad_perm:[1,1,1,1] row_mask:0xf bank_mask:0xf// 00000001F108: 0BF312FA FF0055FE
	v_mul_f32_dpp v250, v254, v138 quad_perm:[2,2,2,2] row_mask:0xf bank_mask:0xf// 00000001F110: 0BF514FA FF00AAFE
	v_mul_f32_dpp v251, v254, v139 quad_perm:[3,3,3,3] row_mask:0xf bank_mask:0xf// 00000001F118: 0BF716FA FF00FFFE
	v_mul_f32_dpp v252, v255, v140 quad_perm:[0,0,0,0] row_mask:0xf bank_mask:0xf// 00000001F120: 0BF918FA FF0000FF
	v_mul_f32_dpp v253, v255, v141 quad_perm:[1,1,1,1] row_mask:0xf bank_mask:0xf// 00000001F128: 0BFB1AFA FF0055FF
	v_mul_f32_dpp v254, v255, v142 quad_perm:[2,2,2,2] row_mask:0xf bank_mask:0xf// 00000001F130: 0BFD1CFA FF00AAFF
	v_mul_f32_dpp v255, v255, v143 quad_perm:[3,3,3,3] row_mask:0xf bank_mask:0xf// 00000001F138: 0BFF1EFA FF00FFFF
	v_mov_b32_e32 v48, 0x358637bd                              // 00000001F140: 7E6002FF 358637BD
	v_max3_f32 v48, |v240|, |v241|, v48                        // 00000001F148: D1D30330 04C3E3F0
	v_max3_f32 v48, |v242|, |v243|, v48                        // 00000001F150: D1D30330 04C3E7F2
	v_max3_f32 v48, |v244|, |v245|, v48                        // 00000001F158: D1D30330 04C3EBF4
	v_max3_f32 v48, |v246|, |v247|, v48                        // 00000001F160: D1D30330 04C3EFF6
	v_max3_f32 v48, |v248|, |v249|, v48                        // 00000001F168: D1D30330 04C3F3F8
	v_max3_f32 v48, |v250|, |v251|, v48                        // 00000001F170: D1D30330 04C3F7FA
	v_max3_f32 v48, |v252|, |v253|, v48                        // 00000001F178: D1D30330 04C3FBFC
	v_max3_f32 v48, |v254|, |v255|, v48                        // 00000001F180: D1D30330 04C3FFFE
	ds_write_b32 v8, v48 offset:20992                          // 00000001F188: D81A5200 00003008
	v_sub_f32_e32 v50, v12, v15                                // 00000001F190: 04641F0C
	v_cndmask_b32_e64 v50, v50, 0, s[40:41]                    // 00000001F194: D1000032 00A10132
	v_mov_b32_e32 v12, v15                                     // 00000001F19C: 7E18030F
	v_mul_f32_e32 v50, s64, v50                                // 00000001F1A0: 0A646440
	v_exp_f32_e32 v50, v50                                     // 00000001F1A4: 7E644132
	s_waitcnt lgkmcnt(0)                                       // 00000001F1A8: BF8CC07F
	s_barrier                                                  // 00000001F1AC: BF8A0000
	ds_read_b32 v64, v7 offset:20992                           // 00000001F1B0: D86C5200 40000007
	ds_read_b32 v65, v7 offset:21056                           // 00000001F1B8: D86C5240 41000007
	ds_read_b32 v66, v7 offset:21120                           // 00000001F1C0: D86C5280 42000007
	ds_read_b32 v67, v7 offset:21184                           // 00000001F1C8: D86C52C0 43000007
	ds_read_b32 v68, v7 offset:21248                           // 00000001F1D0: D86C5300 44000007
	ds_read_b32 v69, v7 offset:21312                           // 00000001F1D8: D86C5340 45000007
	ds_read_b32 v70, v7 offset:21376                           // 00000001F1E0: D86C5380 46000007
	ds_read_b32 v71, v7 offset:21440                           // 00000001F1E8: D86C53C0 47000007
	ds_read_b32 v72, v7 offset:21504                           // 00000001F1F0: D86C5400 48000007
	ds_read_b32 v73, v7 offset:21568                           // 00000001F1F8: D86C5440 49000007
	ds_read_b32 v74, v7 offset:21632                           // 00000001F200: D86C5480 4A000007
	ds_read_b32 v75, v7 offset:21696                           // 00000001F208: D86C54C0 4B000007
	ds_read_b32 v76, v7 offset:21760                           // 00000001F210: D86C5500 4C000007
	ds_read_b32 v77, v7 offset:21824                           // 00000001F218: D86C5540 4D000007
	ds_read_b32 v78, v7 offset:21888                           // 00000001F220: D86C5580 4E000007
	ds_read_b32 v79, v7 offset:21952                           // 00000001F228: D86C55C0 4F000007
	v_mul_f32_e32 v39, v50, v39                                // 00000001F230: 0A4E4F32
	v_mov_b32_e32 v15, v128                                    // 00000001F234: 7E1E0380
	v_add_f32_e32 v15, v129, v15                               // 00000001F238: 021E1F81
	v_add_f32_e32 v15, v130, v15                               // 00000001F23C: 021E1F82
	v_add_f32_e32 v15, v131, v15                               // 00000001F240: 021E1F83
	v_add_f32_e32 v15, v132, v15                               // 00000001F244: 021E1F84
	v_add_f32_e32 v15, v133, v15                               // 00000001F248: 021E1F85
	v_add_f32_e32 v15, v134, v15                               // 00000001F24C: 021E1F86
	v_add_f32_e32 v15, v135, v15                               // 00000001F250: 021E1F87
	v_add_f32_e32 v15, v136, v15                               // 00000001F254: 021E1F88
	v_add_f32_e32 v15, v137, v15                               // 00000001F258: 021E1F89
	v_add_f32_e32 v15, v138, v15                               // 00000001F25C: 021E1F8A
	v_add_f32_e32 v15, v139, v15                               // 00000001F260: 021E1F8B
	v_add_f32_e32 v15, v140, v15                               // 00000001F264: 021E1F8C
	v_add_f32_e32 v15, v141, v15                               // 00000001F268: 021E1F8D
	v_add_f32_e32 v15, v142, v15                               // 00000001F26C: 021E1F8E
	v_add_f32_e32 v15, v143, v15                               // 00000001F270: 021E1F8F
	v_add_f32_e32 v39, v15, v39                                // 00000001F274: 024E4F0F
	s_waitcnt lgkmcnt(0)                                       // 00000001F278: BF8CC07F
	v_max3_f32 v48, |v64|, |v65|, v48                          // 00000001F27C: D1D30330 04C28340
	v_max3_f32 v48, |v66|, |v67|, v48                          // 00000001F284: D1D30330 04C28742
	v_max3_f32 v48, |v68|, |v69|, v48                          // 00000001F28C: D1D30330 04C28B44
	v_max3_f32 v48, |v70|, |v71|, v48                          // 00000001F294: D1D30330 04C28F46
	v_max3_f32 v48, |v72|, |v73|, v48                          // 00000001F29C: D1D30330 04C29348
	v_max3_f32 v48, |v74|, |v75|, v48                          // 00000001F2A4: D1D30330 04C2974A
	v_max3_f32 v48, |v76|, |v77|, v48                          // 00000001F2AC: D1D30330 04C29B4C
	v_max3_f32 v48, |v78|, |v79|, v48                          // 00000001F2B4: D1D30330 04C29F4E
	s_nop 2                                                    // 00000001F2BC: BF800002
	v_rcp_f32_e32 v48, v48                                     // 00000001F2C0: 7E604530
	s_nop 1                                                    // 00000001F2C4: BF800001
	v_mul_f32_e32 v48, 0x43e00000, v48                         // 00000001F2C8: 0A6060FF 43E00000
	v_mul_f32_e32 v128, v48, v240                              // 00000001F2D0: 0B01E130
	v_mul_f32_e32 v129, v48, v241                              // 00000001F2D4: 0B03E330
	v_mul_f32_e32 v130, v48, v242                              // 00000001F2D8: 0B05E530
	v_mul_f32_e32 v131, v48, v243                              // 00000001F2DC: 0B07E730
	v_mul_f32_e32 v132, v48, v244                              // 00000001F2E0: 0B09E930
	v_mul_f32_e32 v133, v48, v245                              // 00000001F2E4: 0B0BEB30
	v_mul_f32_e32 v134, v48, v246                              // 00000001F2E8: 0B0DED30
	v_mul_f32_e32 v135, v48, v247                              // 00000001F2EC: 0B0FEF30
	v_mul_f32_e32 v136, v48, v248                              // 00000001F2F0: 0B11F130
	v_mul_f32_e32 v137, v48, v249                              // 00000001F2F4: 0B13F330
	v_mul_f32_e32 v138, v48, v250                              // 00000001F2F8: 0B15F530
	v_mul_f32_e32 v139, v48, v251                              // 00000001F2FC: 0B17F730
	v_mul_f32_e32 v140, v48, v252                              // 00000001F300: 0B19F930
	v_mul_f32_e32 v141, v48, v253                              // 00000001F304: 0B1BFB30
	v_mul_f32_e32 v142, v48, v254                              // 00000001F308: 0B1DFD30
	v_mul_f32_e32 v143, v48, v255                              // 00000001F30C: 0B1FFF30
	v_cvt_pk_fp8_f32 v128, v128, v129                          // 00000001F310: D2A20080 00030380
	v_cvt_pk_fp8_f32 v128, v130, v131 op_sel:[0,0,1]           // 00000001F318: D2A24080 00030782
	v_cvt_pk_fp8_f32 v129, v132, v133                          // 00000001F320: D2A20081 00030B84
	v_cvt_pk_fp8_f32 v129, v134, v135 op_sel:[0,0,1]           // 00000001F328: D2A24081 00030F86
	v_cvt_pk_fp8_f32 v130, v136, v137                          // 00000001F330: D2A20082 00031388
	v_cvt_pk_fp8_f32 v130, v138, v139 op_sel:[0,0,1]           // 00000001F338: D2A24082 0003178A
	v_cvt_pk_fp8_f32 v131, v140, v141                          // 00000001F340: D2A20083 00031B8C
	v_cvt_pk_fp8_f32 v131, v142, v143 op_sel:[0,0,1]           // 00000001F348: D2A24083 00031F8E
	ds_write_b32 v10, v128 offset:29184                        // 00000001F350: D81A7200 0000800A
	ds_write_b32 v10, v129 offset:30208                        // 00000001F358: D81A7600 0000810A
	ds_write_b32 v10, v130 offset:31232                        // 00000001F360: D81A7A00 0000820A
	ds_write_b32 v10, v131 offset:32256                        // 00000001F368: D81A7E00 0000830A
	v_add_f32_e32 v216, v216, v184                             // 00000001F370: 03B171D8
	v_add_f32_e32 v217, v217, v185                             // 00000001F374: 03B373D9
	v_add_f32_e32 v218, v218, v186                             // 00000001F378: 03B575DA
	v_add_f32_e32 v219, v219, v187                             // 00000001F37C: 03B777DB
	v_add_f32_e32 v220, v220, v188                             // 00000001F380: 03B979DC
	v_add_f32_e32 v221, v221, v189                             // 00000001F384: 03BB7BDD
	v_add_f32_e32 v222, v222, v190                             // 00000001F388: 03BD7DDE
	v_add_f32_e32 v223, v223, v191                             // 00000001F38C: 03BF7FDF
	v_rcp_f32_e32 v45, v48                                     // 00000001F390: 7E5A4530
	s_waitcnt lgkmcnt(0)                                       // 00000001F394: BF8CC07F
	s_barrier                                                  // 00000001F398: BF8A0000
	ds_read_b64 v[128:129], v9 offset:29184                    // 00000001F39C: D8EC7200 80000009
	ds_read_b64 v[130:131], v9 offset:29312                    // 00000001F3A4: D8EC7280 82000009
	ds_read_b64 v[132:133], v9 offset:30208                    // 00000001F3AC: D8EC7600 84000009
	ds_read_b64 v[134:135], v9 offset:30336                    // 00000001F3B4: D8EC7680 86000009
	ds_read_b64 v[136:137], v9 offset:31232                    // 00000001F3BC: D8EC7A00 88000009
	ds_read_b64 v[138:139], v9 offset:31360                    // 00000001F3C4: D8EC7A80 8A000009
	ds_read_b64 v[140:141], v9 offset:32256                    // 00000001F3CC: D8EC7E00 8C000009
	ds_read_b64 v[142:143], v9 offset:32384                    // 00000001F3D4: D8EC7E80 8E000009
	v_mov_b32_dpp v64, v42 row_shr:4 row_mask:0xf bank_mask:0xf// 00000001F3DC: 7E8002FA FF01142A
	v_mov_b32_dpp v65, v42 row_shl:4 row_mask:0xf bank_mask:0xf// 00000001F3E4: 7E8202FA FF01042A
	v_cndmask_b32_e64 v248, v42, v64, s[44:45]                 // 00000001F3EC: D10000F8 00B2812A
	v_cndmask_b32_e64 v249, v65, v42, s[44:45]                 // 00000001F3F4: D10000F9 00B25541
	v_mov_b32_dpp v64, v248 row_shr:8 row_mask:0xf bank_mask:0xf// 00000001F3FC: 7E8002FA FF0118F8
	v_mov_b32_dpp v65, v248 row_shl:8 row_mask:0xf bank_mask:0xf// 00000001F404: 7E8202FA FF0108F8
	v_mov_b32_dpp v66, v249 row_shr:8 row_mask:0xf bank_mask:0xf// 00000001F40C: 7E8402FA FF0118F9
	v_mov_b32_dpp v67, v249 row_shl:8 row_mask:0xf bank_mask:0xf// 00000001F414: 7E8602FA FF0108F9
	v_mov_b32_e32 v68, v248                                    // 00000001F41C: 7E8803F8
	v_mov_b32_e32 v69, v249                                    // 00000001F420: 7E8A03F9
	v_cndmask_b32_e64 v248, v68, v64, s[42:43]                 // 00000001F424: D10000F8 00AA8144
	v_cndmask_b32_e64 v250, v68, v65, s[78:79]                 // 00000001F42C: D10000FA 013A8344
	v_cndmask_b32_e64 v249, v69, v66, s[42:43]                 // 00000001F434: D10000F9 00AA8545
	v_cndmask_b32_e64 v251, v69, v67, s[78:79]                 // 00000001F43C: D10000FB 013A8745
	v_mov_b32_dpp v64, v57 row_shr:4 row_mask:0xf bank_mask:0xf// 00000001F444: 7E8002FA FF011439
	v_mov_b32_dpp v65, v57 row_shl:4 row_mask:0xf bank_mask:0xf// 00000001F44C: 7E8202FA FF010439
	v_cndmask_b32_e64 v252, v57, v64, s[44:45]                 // 00000001F454: D10000FC 00B28139
	v_cndmask_b32_e64 v253, v65, v57, s[44:45]                 // 00000001F45C: D10000FD 00B27341
	v_mov_b32_dpp v64, v252 row_shr:8 row_mask:0xf bank_mask:0xf// 00000001F464: 7E8002FA FF0118FC
	v_mov_b32_dpp v65, v252 row_shl:8 row_mask:0xf bank_mask:0xf// 00000001F46C: 7E8202FA FF0108FC
	v_mov_b32_dpp v66, v253 row_shr:8 row_mask:0xf bank_mask:0xf// 00000001F474: 7E8402FA FF0118FD
	v_mov_b32_dpp v67, v253 row_shl:8 row_mask:0xf bank_mask:0xf// 00000001F47C: 7E8602FA FF0108FD
	v_mov_b32_e32 v68, v252                                    // 00000001F484: 7E8803FC
	v_mov_b32_e32 v69, v253                                    // 00000001F488: 7E8A03FD
	v_cndmask_b32_e64 v252, v68, v64, s[42:43]                 // 00000001F48C: D10000FC 00AA8144
	v_cndmask_b32_e64 v254, v68, v65, s[78:79]                 // 00000001F494: D10000FE 013A8344
	v_cndmask_b32_e64 v253, v69, v66, s[42:43]                 // 00000001F49C: D10000FD 00AA8545
	v_cndmask_b32_e64 v255, v69, v67, s[78:79]                 // 00000001F4A4: D10000FF 013A8745
	v_mul_f32_e32 v144, v20, v144                              // 00000001F4AC: 0B212114
	v_mul_f32_e32 v145, v20, v145                              // 00000001F4B0: 0B232314
	v_mul_f32_e32 v146, v20, v146                              // 00000001F4B4: 0B252514
	v_mul_f32_e32 v147, v20, v147                              // 00000001F4B8: 0B272714
	v_mul_f32_e32 v148, v20, v148                              // 00000001F4BC: 0B292914
	v_mul_f32_e32 v149, v20, v149                              // 00000001F4C0: 0B2B2B14
	v_mul_f32_e32 v150, v20, v150                              // 00000001F4C4: 0B2D2D14
	v_mul_f32_e32 v151, v20, v151                              // 00000001F4C8: 0B2F2F14
	v_mul_f32_e32 v152, v20, v152                              // 00000001F4CC: 0B313114
	v_mul_f32_e32 v153, v20, v153                              // 00000001F4D0: 0B333314
	v_mul_f32_e32 v154, v20, v154                              // 00000001F4D4: 0B353514
	v_mul_f32_e32 v155, v20, v155                              // 00000001F4D8: 0B373714
	v_mul_f32_e32 v156, v20, v156                              // 00000001F4DC: 0B393914
	v_mul_f32_e32 v157, v20, v157                              // 00000001F4E0: 0B3B3B14
	v_mul_f32_e32 v158, v20, v158                              // 00000001F4E4: 0B3D3D14
	v_mul_f32_e32 v159, v20, v159                              // 00000001F4E8: 0B3F3F14
	v_mul_f32_dpp v144, v248, v144 quad_perm:[0,0,0,0] row_mask:0xf bank_mask:0xf// 00000001F4EC: 0B2120FA FF0000F8
	v_mul_f32_dpp v145, v248, v145 quad_perm:[1,1,1,1] row_mask:0xf bank_mask:0xf// 00000001F4F4: 0B2322FA FF0055F8
	v_mul_f32_dpp v146, v248, v146 quad_perm:[2,2,2,2] row_mask:0xf bank_mask:0xf// 00000001F4FC: 0B2524FA FF00AAF8
	v_mul_f32_dpp v147, v248, v147 quad_perm:[3,3,3,3] row_mask:0xf bank_mask:0xf// 00000001F504: 0B2726FA FF00FFF8
	v_mul_f32_dpp v148, v249, v148 quad_perm:[0,0,0,0] row_mask:0xf bank_mask:0xf// 00000001F50C: 0B2928FA FF0000F9
	v_mul_f32_dpp v149, v249, v149 quad_perm:[1,1,1,1] row_mask:0xf bank_mask:0xf// 00000001F514: 0B2B2AFA FF0055F9
	v_mul_f32_dpp v150, v249, v150 quad_perm:[2,2,2,2] row_mask:0xf bank_mask:0xf// 00000001F51C: 0B2D2CFA FF00AAF9
	v_mul_f32_dpp v151, v249, v151 quad_perm:[3,3,3,3] row_mask:0xf bank_mask:0xf// 00000001F524: 0B2F2EFA FF00FFF9
	v_mul_f32_dpp v152, v250, v152 quad_perm:[0,0,0,0] row_mask:0xf bank_mask:0xf// 00000001F52C: 0B3130FA FF0000FA
	v_mul_f32_dpp v153, v250, v153 quad_perm:[1,1,1,1] row_mask:0xf bank_mask:0xf// 00000001F534: 0B3332FA FF0055FA
	v_mul_f32_dpp v154, v250, v154 quad_perm:[2,2,2,2] row_mask:0xf bank_mask:0xf// 00000001F53C: 0B3534FA FF00AAFA
	v_mul_f32_dpp v155, v250, v155 quad_perm:[3,3,3,3] row_mask:0xf bank_mask:0xf// 00000001F544: 0B3736FA FF00FFFA
	v_mul_f32_dpp v156, v251, v156 quad_perm:[0,0,0,0] row_mask:0xf bank_mask:0xf// 00000001F54C: 0B3938FA FF0000FB
	v_mul_f32_dpp v157, v251, v157 quad_perm:[1,1,1,1] row_mask:0xf bank_mask:0xf// 00000001F554: 0B3B3AFA FF0055FB
	v_mul_f32_dpp v158, v251, v158 quad_perm:[2,2,2,2] row_mask:0xf bank_mask:0xf// 00000001F55C: 0B3D3CFA FF00AAFB
	v_mul_f32_dpp v159, v251, v159 quad_perm:[3,3,3,3] row_mask:0xf bank_mask:0xf// 00000001F564: 0B3F3EFA FF00FFFB
	s_cmp_le_i32 s90, s89                                      // 00000001F56C: BF05595A
	s_cbranch_scc1 label_754E                                  // 00000001F570: BF850071
	v_mov_b32_e32 v66, 0xff800000                              // 00000001F574: 7E8402FF FF800000
	s_mov_b32 s60, s90                                         // 00000001F57C: BEBC005A
	s_add_u32 s61, s89, 0xff                                   // 00000001F580: 803DFF59 000000FF
	v_mov_b32_e32 v64, s61                                     // 00000001F588: 7E80023D
	v_lshrrev_b32_e32 v240, 4, v0                              // 00000001F58C: 21E00084
	v_mul_i32_i24_e32 v240, 4, v240                            // 00000001F590: 0DE1E084
	v_add_u32_e32 v240, s60, v240                              // 00000001F594: 69E1E03C
	s_mov_b32 s61, 2                                           // 00000001F598: BEBD0082
	s_mul_i32 s60, 16, s7                                      // 00000001F59C: 923C0790
	v_sub_u32_e64 v240, v240, s61                              // 00000001F5A0: D13500F0 00007BF0
	v_add_u32_e32 v240, s60, v240                              // 00000001F5A8: 69E1E03C
	v_add_u32_e32 v241, 1, v240                                // 00000001F5AC: 69E3E081
	v_add_u32_e32 v242, 2, v240                                // 00000001F5B0: 69E5E082
	v_add_u32_e32 v243, 3, v240                                // 00000001F5B4: 69E7E083
	v_cmp_le_u32_e64 s[40:41], v240, v64                       // 00000001F5B8: D0CB0028 000281F0
	v_add_u32_e32 v240, 64, v240                               // 00000001F5C0: 69E1E0C0
	s_nop 0                                                    // 00000001F5C4: BF800000
	v_cndmask_b32_e64 v144, v66, v144, s[40:41]                // 00000001F5C8: D1000090 00A32142
	v_cmp_le_u32_e64 s[40:41], v241, v64                       // 00000001F5D0: D0CB0028 000281F1
	v_add_u32_e32 v241, 64, v241                               // 00000001F5D8: 69E3E2C0
	s_nop 0                                                    // 00000001F5DC: BF800000
	v_cndmask_b32_e64 v145, v66, v145, s[40:41]                // 00000001F5E0: D1000091 00A32342
	v_cmp_le_u32_e64 s[40:41], v242, v64                       // 00000001F5E8: D0CB0028 000281F2
	v_add_u32_e32 v242, 64, v242                               // 00000001F5F0: 69E5E4C0
	s_nop 0                                                    // 00000001F5F4: BF800000
	v_cndmask_b32_e64 v146, v66, v146, s[40:41]                // 00000001F5F8: D1000092 00A32542
	v_cmp_le_u32_e64 s[40:41], v243, v64                       // 00000001F600: D0CB0028 000281F3
	v_add_u32_e32 v243, 64, v243                               // 00000001F608: 69E7E6C0
	s_nop 0                                                    // 00000001F60C: BF800000
	v_cndmask_b32_e64 v147, v66, v147, s[40:41]                // 00000001F610: D1000093 00A32742
	v_cmp_le_u32_e64 s[40:41], v240, v64                       // 00000001F618: D0CB0028 000281F0
	v_add_u32_e32 v240, 64, v240                               // 00000001F620: 69E1E0C0
	s_nop 0                                                    // 00000001F624: BF800000
	v_cndmask_b32_e64 v148, v66, v148, s[40:41]                // 00000001F628: D1000094 00A32942
	v_cmp_le_u32_e64 s[40:41], v241, v64                       // 00000001F630: D0CB0028 000281F1
	v_add_u32_e32 v241, 64, v241                               // 00000001F638: 69E3E2C0
	s_nop 0                                                    // 00000001F63C: BF800000
	v_cndmask_b32_e64 v149, v66, v149, s[40:41]                // 00000001F640: D1000095 00A32B42
	v_cmp_le_u32_e64 s[40:41], v242, v64                       // 00000001F648: D0CB0028 000281F2
	v_add_u32_e32 v242, 64, v242                               // 00000001F650: 69E5E4C0
	s_nop 0                                                    // 00000001F654: BF800000
	v_cndmask_b32_e64 v150, v66, v150, s[40:41]                // 00000001F658: D1000096 00A32D42
	v_cmp_le_u32_e64 s[40:41], v243, v64                       // 00000001F660: D0CB0028 000281F3
	v_add_u32_e32 v243, 64, v243                               // 00000001F668: 69E7E6C0
	s_nop 0                                                    // 00000001F66C: BF800000
	v_cndmask_b32_e64 v151, v66, v151, s[40:41]                // 00000001F670: D1000097 00A32F42
	v_cmp_le_u32_e64 s[40:41], v240, v64                       // 00000001F678: D0CB0028 000281F0
	v_add_u32_e32 v240, 64, v240                               // 00000001F680: 69E1E0C0
	s_nop 0                                                    // 00000001F684: BF800000
	v_cndmask_b32_e64 v152, v66, v152, s[40:41]                // 00000001F688: D1000098 00A33142
	v_cmp_le_u32_e64 s[40:41], v241, v64                       // 00000001F690: D0CB0028 000281F1
	v_add_u32_e32 v241, 64, v241                               // 00000001F698: 69E3E2C0
	s_nop 0                                                    // 00000001F69C: BF800000
	v_cndmask_b32_e64 v153, v66, v153, s[40:41]                // 00000001F6A0: D1000099 00A33342
	v_cmp_le_u32_e64 s[40:41], v242, v64                       // 00000001F6A8: D0CB0028 000281F2
	v_add_u32_e32 v242, 64, v242                               // 00000001F6B0: 69E5E4C0
	s_nop 0                                                    // 00000001F6B4: BF800000
	v_cndmask_b32_e64 v154, v66, v154, s[40:41]                // 00000001F6B8: D100009A 00A33542
	v_cmp_le_u32_e64 s[40:41], v243, v64                       // 00000001F6C0: D0CB0028 000281F3
	v_add_u32_e32 v243, 64, v243                               // 00000001F6C8: 69E7E6C0
	s_nop 0                                                    // 00000001F6CC: BF800000
	v_cndmask_b32_e64 v155, v66, v155, s[40:41]                // 00000001F6D0: D100009B 00A33742
	v_cmp_le_u32_e64 s[40:41], v240, v64                       // 00000001F6D8: D0CB0028 000281F0
	v_add_u32_e32 v240, 64, v240                               // 00000001F6E0: 69E1E0C0
	s_nop 0                                                    // 00000001F6E4: BF800000
	v_cndmask_b32_e64 v156, v66, v156, s[40:41]                // 00000001F6E8: D100009C 00A33942
	v_cmp_le_u32_e64 s[40:41], v241, v64                       // 00000001F6F0: D0CB0028 000281F1
	v_add_u32_e32 v241, 64, v241                               // 00000001F6F8: 69E3E2C0
	s_nop 0                                                    // 00000001F6FC: BF800000
	v_cndmask_b32_e64 v157, v66, v157, s[40:41]                // 00000001F700: D100009D 00A33B42
	v_cmp_le_u32_e64 s[40:41], v242, v64                       // 00000001F708: D0CB0028 000281F2
	v_add_u32_e32 v242, 64, v242                               // 00000001F710: 69E5E4C0
	s_nop 0                                                    // 00000001F714: BF800000
	v_cndmask_b32_e64 v158, v66, v158, s[40:41]                // 00000001F718: D100009E 00A33D42
	v_cmp_le_u32_e64 s[40:41], v243, v64                       // 00000001F720: D0CB0028 000281F3
	v_add_u32_e32 v243, 64, v243                               // 00000001F728: 69E7E6C0
	s_nop 0                                                    // 00000001F72C: BF800000
	v_cndmask_b32_e64 v159, v66, v159, s[40:41]                // 00000001F730: D100009F 00A33F42

000000000001f738 <label_754E>:
	v_mov_b32_e32 v48, v144                                    // 00000001F738: 7E600390
	v_max3_f32 v48, v144, v145, v48                            // 00000001F73C: D1D30030 04C32390
	v_max3_f32 v48, v146, v147, v48                            // 00000001F744: D1D30030 04C32792
	v_max3_f32 v48, v148, v149, v48                            // 00000001F74C: D1D30030 04C32B94
	v_max3_f32 v48, v150, v151, v48                            // 00000001F754: D1D30030 04C32F96
	v_max3_f32 v48, v152, v153, v48                            // 00000001F75C: D1D30030 04C33398
	v_max3_f32 v48, v154, v155, v48                            // 00000001F764: D1D30030 04C3379A
	v_max3_f32 v48, v156, v157, v48                            // 00000001F76C: D1D30030 04C33B9C
	v_max3_f32 v48, v158, v159, v48                            // 00000001F774: D1D30030 04C33F9E
	ds_write_b32 v8, v48 offset:16896                          // 00000001F77C: D81A4200 00003008
	v_mul_f32_e32 v224, v51, v224                              // 00000001F784: 0BC1C133
	v_mul_f32_e32 v225, v51, v225                              // 00000001F788: 0BC3C333
	v_mul_f32_e32 v226, v51, v226                              // 00000001F78C: 0BC5C533
	v_mul_f32_e32 v227, v51, v227                              // 00000001F790: 0BC7C733
	v_mul_f32_e32 v228, v51, v228                              // 00000001F794: 0BC9C933
	v_mul_f32_e32 v229, v51, v229                              // 00000001F798: 0BCBCB33
	v_mul_f32_e32 v230, v51, v230                              // 00000001F79C: 0BCDCD33
	v_mul_f32_e32 v231, v51, v231                              // 00000001F7A0: 0BCFCF33
	s_waitcnt lgkmcnt(0)                                       // 00000001F7A4: BF8CC07F
	s_barrier                                                  // 00000001F7A8: BF8A0000
	ds_read_b32 v64, v7 offset:16896                           // 00000001F7AC: D86C4200 40000007
	ds_read_b32 v65, v7 offset:16960                           // 00000001F7B4: D86C4240 41000007
	ds_read_b32 v66, v7 offset:17024                           // 00000001F7BC: D86C4280 42000007
	ds_read_b32 v67, v7 offset:17088                           // 00000001F7C4: D86C42C0 43000007
	ds_read_b32 v68, v7 offset:17152                           // 00000001F7CC: D86C4300 44000007
	ds_read_b32 v69, v7 offset:17216                           // 00000001F7D4: D86C4340 45000007
	ds_read_b32 v70, v7 offset:17280                           // 00000001F7DC: D86C4380 46000007
	ds_read_b32 v71, v7 offset:17344                           // 00000001F7E4: D86C43C0 47000007
	ds_read_b32 v72, v7 offset:17408                           // 00000001F7EC: D86C4400 48000007
	ds_read_b32 v73, v7 offset:17472                           // 00000001F7F4: D86C4440 49000007
	ds_read_b32 v74, v7 offset:17536                           // 00000001F7FC: D86C4480 4A000007
	ds_read_b32 v75, v7 offset:17600                           // 00000001F804: D86C44C0 4B000007
	ds_read_b32 v76, v7 offset:17664                           // 00000001F80C: D86C4500 4C000007
	ds_read_b32 v77, v7 offset:17728                           // 00000001F814: D86C4540 4D000007
	ds_read_b32 v78, v7 offset:17792                           // 00000001F81C: D86C4580 4E000007
	ds_read_b32 v79, v7 offset:17856                           // 00000001F824: D86C45C0 4F000007
	v_mul_f32_e32 v192, v46, v192                              // 00000001F82C: 0B81812E
	v_mul_f32_e32 v193, v46, v193                              // 00000001F830: 0B83832E
	v_mul_f32_e32 v194, v46, v194                              // 00000001F834: 0B85852E
	v_mul_f32_e32 v195, v46, v195                              // 00000001F838: 0B87872E
	v_mul_f32_e32 v196, v46, v196                              // 00000001F83C: 0B89892E
	v_mul_f32_e32 v197, v46, v197                              // 00000001F840: 0B8B8B2E
	v_mul_f32_e32 v198, v46, v198                              // 00000001F844: 0B8D8D2E
	v_mul_f32_e32 v199, v46, v199                              // 00000001F848: 0B8F8F2E
	s_waitcnt lgkmcnt(0)                                       // 00000001F84C: BF8CC07F
	v_max3_f32 v48, v64, v65, v48                              // 00000001F850: D1D30030 04C28340
	v_max3_f32 v48, v66, v67, v48                              // 00000001F858: D1D30030 04C28742
	v_max3_f32 v48, v68, v69, v48                              // 00000001F860: D1D30030 04C28B44
	v_max3_f32 v48, v70, v71, v48                              // 00000001F868: D1D30030 04C28F46
	v_max3_f32 v48, v72, v73, v48                              // 00000001F870: D1D30030 04C29348
	v_max3_f32 v48, v74, v75, v48                              // 00000001F878: D1D30030 04C2974A
	v_max3_f32 v48, v76, v77, v48                              // 00000001F880: D1D30030 04C29B4C
	v_max3_f32 v48, v78, v79, v48                              // 00000001F888: D1D30030 04C29F4E
	v_mov_b32_e32 v64, 0xff800000                              // 00000001F890: 7E8002FF FF800000
	v_cmp_eq_u32_e64 s[40:41], v64, v13                        // 00000001F898: D0CA0028 00021B40
	s_nop 1                                                    // 00000001F8A0: BF800001
	v_max_f32_e32 v15, v48, v13                                // 00000001F8A4: 161E1B30
	v_mul_f32_e32 v53, s64, v15                                // 00000001F8A8: 0A6A1E40
	v_fma_f32 v144, v144, s64, -v53                            // 00000001F8AC: D1CB0090 84D48190
	v_fma_f32 v145, v145, s64, -v53                            // 00000001F8B4: D1CB0091 84D48191
	v_fma_f32 v146, v146, s64, -v53                            // 00000001F8BC: D1CB0092 84D48192
	v_fma_f32 v147, v147, s64, -v53                            // 00000001F8C4: D1CB0093 84D48193
	v_fma_f32 v148, v148, s64, -v53                            // 00000001F8CC: D1CB0094 84D48194
	v_fma_f32 v149, v149, s64, -v53                            // 00000001F8D4: D1CB0095 84D48195
	v_fma_f32 v150, v150, s64, -v53                            // 00000001F8DC: D1CB0096 84D48196
	v_fma_f32 v151, v151, s64, -v53                            // 00000001F8E4: D1CB0097 84D48197
	v_fma_f32 v152, v152, s64, -v53                            // 00000001F8EC: D1CB0098 84D48198
	v_fma_f32 v153, v153, s64, -v53                            // 00000001F8F4: D1CB0099 84D48199
	v_fma_f32 v154, v154, s64, -v53                            // 00000001F8FC: D1CB009A 84D4819A
	v_fma_f32 v155, v155, s64, -v53                            // 00000001F904: D1CB009B 84D4819B
	v_fma_f32 v156, v156, s64, -v53                            // 00000001F90C: D1CB009C 84D4819C
	v_fma_f32 v157, v157, s64, -v53                            // 00000001F914: D1CB009D 84D4819D
	v_fma_f32 v158, v158, s64, -v53                            // 00000001F91C: D1CB009E 84D4819E
	v_fma_f32 v159, v159, s64, -v53                            // 00000001F924: D1CB009F 84D4819F
	v_exp_f32_e32 v144, v144                                   // 00000001F92C: 7F204190
	v_exp_f32_e32 v145, v145                                   // 00000001F930: 7F224191
	v_exp_f32_e32 v146, v146                                   // 00000001F934: 7F244192
	v_exp_f32_e32 v147, v147                                   // 00000001F938: 7F264193
	v_exp_f32_e32 v148, v148                                   // 00000001F93C: 7F284194
	v_exp_f32_e32 v149, v149                                   // 00000001F940: 7F2A4195
	v_exp_f32_e32 v150, v150                                   // 00000001F944: 7F2C4196
	v_exp_f32_e32 v151, v151                                   // 00000001F948: 7F2E4197
	v_exp_f32_e32 v152, v152                                   // 00000001F94C: 7F304198
	v_exp_f32_e32 v153, v153                                   // 00000001F950: 7F324199
	v_exp_f32_e32 v154, v154                                   // 00000001F954: 7F34419A
	v_exp_f32_e32 v155, v155                                   // 00000001F958: 7F36419B
	v_exp_f32_e32 v156, v156                                   // 00000001F95C: 7F38419C
	v_exp_f32_e32 v157, v157                                   // 00000001F960: 7F3A419D
	v_exp_f32_e32 v158, v158                                   // 00000001F964: 7F3C419E
	v_exp_f32_e32 v159, v159                                   // 00000001F968: 7F3E419F
	v_mul_f32_dpp v240, v252, v144 quad_perm:[0,0,0,0] row_mask:0xf bank_mask:0xf// 00000001F96C: 0BE120FA FF0000FC
	v_mul_f32_dpp v241, v252, v145 quad_perm:[1,1,1,1] row_mask:0xf bank_mask:0xf// 00000001F974: 0BE322FA FF0055FC
	v_mul_f32_dpp v242, v252, v146 quad_perm:[2,2,2,2] row_mask:0xf bank_mask:0xf// 00000001F97C: 0BE524FA FF00AAFC
	v_mul_f32_dpp v243, v252, v147 quad_perm:[3,3,3,3] row_mask:0xf bank_mask:0xf// 00000001F984: 0BE726FA FF00FFFC
	v_mul_f32_dpp v244, v253, v148 quad_perm:[0,0,0,0] row_mask:0xf bank_mask:0xf// 00000001F98C: 0BE928FA FF0000FD
	v_mul_f32_dpp v245, v253, v149 quad_perm:[1,1,1,1] row_mask:0xf bank_mask:0xf// 00000001F994: 0BEB2AFA FF0055FD
	v_mul_f32_dpp v246, v253, v150 quad_perm:[2,2,2,2] row_mask:0xf bank_mask:0xf// 00000001F99C: 0BED2CFA FF00AAFD
	v_mul_f32_dpp v247, v253, v151 quad_perm:[3,3,3,3] row_mask:0xf bank_mask:0xf// 00000001F9A4: 0BEF2EFA FF00FFFD
	v_mul_f32_dpp v248, v254, v152 quad_perm:[0,0,0,0] row_mask:0xf bank_mask:0xf// 00000001F9AC: 0BF130FA FF0000FE
	v_mul_f32_dpp v249, v254, v153 quad_perm:[1,1,1,1] row_mask:0xf bank_mask:0xf// 00000001F9B4: 0BF332FA FF0055FE
	v_mul_f32_dpp v250, v254, v154 quad_perm:[2,2,2,2] row_mask:0xf bank_mask:0xf// 00000001F9BC: 0BF534FA FF00AAFE
	v_mul_f32_dpp v251, v254, v155 quad_perm:[3,3,3,3] row_mask:0xf bank_mask:0xf// 00000001F9C4: 0BF736FA FF00FFFE
	v_mul_f32_dpp v252, v255, v156 quad_perm:[0,0,0,0] row_mask:0xf bank_mask:0xf// 00000001F9CC: 0BF938FA FF0000FF
	v_mul_f32_dpp v253, v255, v157 quad_perm:[1,1,1,1] row_mask:0xf bank_mask:0xf// 00000001F9D4: 0BFB3AFA FF0055FF
	v_mul_f32_dpp v254, v255, v158 quad_perm:[2,2,2,2] row_mask:0xf bank_mask:0xf// 00000001F9DC: 0BFD3CFA FF00AAFF
	v_mul_f32_dpp v255, v255, v159 quad_perm:[3,3,3,3] row_mask:0xf bank_mask:0xf// 00000001F9E4: 0BFF3EFA FF00FFFF
	v_mov_b32_e32 v48, 0x358637bd                              // 00000001F9EC: 7E6002FF 358637BD
	v_max3_f32 v48, |v240|, |v241|, v48                        // 00000001F9F4: D1D30330 04C3E3F0
	v_max3_f32 v48, |v242|, |v243|, v48                        // 00000001F9FC: D1D30330 04C3E7F2
	v_max3_f32 v48, |v244|, |v245|, v48                        // 00000001FA04: D1D30330 04C3EBF4
	v_max3_f32 v48, |v246|, |v247|, v48                        // 00000001FA0C: D1D30330 04C3EFF6
	v_max3_f32 v48, |v248|, |v249|, v48                        // 00000001FA14: D1D30330 04C3F3F8
	v_max3_f32 v48, |v250|, |v251|, v48                        // 00000001FA1C: D1D30330 04C3F7FA
	v_max3_f32 v48, |v252|, |v253|, v48                        // 00000001FA24: D1D30330 04C3FBFC
	v_max3_f32 v48, |v254|, |v255|, v48                        // 00000001FA2C: D1D30330 04C3FFFE
	ds_write_b32 v8, v48 offset:20992                          // 00000001FA34: D81A5200 00003008
	v_sub_f32_e32 v51, v13, v15                                // 00000001FA3C: 04661F0D
	v_cndmask_b32_e64 v51, v51, 0, s[40:41]                    // 00000001FA40: D1000033 00A10133
	v_mov_b32_e32 v13, v15                                     // 00000001FA48: 7E1A030F
	v_mul_f32_e32 v51, s64, v51                                // 00000001FA4C: 0A666640
	v_exp_f32_e32 v51, v51                                     // 00000001FA50: 7E664133
	s_waitcnt lgkmcnt(0)                                       // 00000001FA54: BF8CC07F
	s_barrier                                                  // 00000001FA58: BF8A0000
	ds_read_b32 v64, v7 offset:20992                           // 00000001FA5C: D86C5200 40000007
	ds_read_b32 v65, v7 offset:21056                           // 00000001FA64: D86C5240 41000007
	ds_read_b32 v66, v7 offset:21120                           // 00000001FA6C: D86C5280 42000007
	ds_read_b32 v67, v7 offset:21184                           // 00000001FA74: D86C52C0 43000007
	ds_read_b32 v68, v7 offset:21248                           // 00000001FA7C: D86C5300 44000007
	ds_read_b32 v69, v7 offset:21312                           // 00000001FA84: D86C5340 45000007
	ds_read_b32 v70, v7 offset:21376                           // 00000001FA8C: D86C5380 46000007
	ds_read_b32 v71, v7 offset:21440                           // 00000001FA94: D86C53C0 47000007
	ds_read_b32 v72, v7 offset:21504                           // 00000001FA9C: D86C5400 48000007
	ds_read_b32 v73, v7 offset:21568                           // 00000001FAA4: D86C5440 49000007
	ds_read_b32 v74, v7 offset:21632                           // 00000001FAAC: D86C5480 4A000007
	ds_read_b32 v75, v7 offset:21696                           // 00000001FAB4: D86C54C0 4B000007
	ds_read_b32 v76, v7 offset:21760                           // 00000001FABC: D86C5500 4C000007
	ds_read_b32 v77, v7 offset:21824                           // 00000001FAC4: D86C5540 4D000007
	ds_read_b32 v78, v7 offset:21888                           // 00000001FACC: D86C5580 4E000007
	ds_read_b32 v79, v7 offset:21952                           // 00000001FAD4: D86C55C0 4F000007
	v_mul_f32_e32 v40, v51, v40                                // 00000001FADC: 0A505133
	v_mov_b32_e32 v15, v144                                    // 00000001FAE0: 7E1E0390
	v_add_f32_e32 v15, v145, v15                               // 00000001FAE4: 021E1F91
	v_add_f32_e32 v15, v146, v15                               // 00000001FAE8: 021E1F92
	v_add_f32_e32 v15, v147, v15                               // 00000001FAEC: 021E1F93
	v_add_f32_e32 v15, v148, v15                               // 00000001FAF0: 021E1F94
	v_add_f32_e32 v15, v149, v15                               // 00000001FAF4: 021E1F95
	v_add_f32_e32 v15, v150, v15                               // 00000001FAF8: 021E1F96
	v_add_f32_e32 v15, v151, v15                               // 00000001FAFC: 021E1F97
	v_add_f32_e32 v15, v152, v15                               // 00000001FB00: 021E1F98
	v_add_f32_e32 v15, v153, v15                               // 00000001FB04: 021E1F99
	v_add_f32_e32 v15, v154, v15                               // 00000001FB08: 021E1F9A
	v_add_f32_e32 v15, v155, v15                               // 00000001FB0C: 021E1F9B
	v_add_f32_e32 v15, v156, v15                               // 00000001FB10: 021E1F9C
	v_add_f32_e32 v15, v157, v15                               // 00000001FB14: 021E1F9D
	v_add_f32_e32 v15, v158, v15                               // 00000001FB18: 021E1F9E
	v_add_f32_e32 v15, v159, v15                               // 00000001FB1C: 021E1F9F
	v_add_f32_e32 v40, v15, v40                                // 00000001FB20: 0250510F
	s_waitcnt lgkmcnt(0)                                       // 00000001FB24: BF8CC07F
	v_max3_f32 v48, |v64|, |v65|, v48                          // 00000001FB28: D1D30330 04C28340
	v_max3_f32 v48, |v66|, |v67|, v48                          // 00000001FB30: D1D30330 04C28742
	v_max3_f32 v48, |v68|, |v69|, v48                          // 00000001FB38: D1D30330 04C28B44
	v_max3_f32 v48, |v70|, |v71|, v48                          // 00000001FB40: D1D30330 04C28F46
	v_max3_f32 v48, |v72|, |v73|, v48                          // 00000001FB48: D1D30330 04C29348
	v_max3_f32 v48, |v74|, |v75|, v48                          // 00000001FB50: D1D30330 04C2974A
	v_max3_f32 v48, |v76|, |v77|, v48                          // 00000001FB58: D1D30330 04C29B4C
	v_max3_f32 v48, |v78|, |v79|, v48                          // 00000001FB60: D1D30330 04C29F4E
	s_nop 2                                                    // 00000001FB68: BF800002
	v_rcp_f32_e32 v48, v48                                     // 00000001FB6C: 7E604530
	s_nop 1                                                    // 00000001FB70: BF800001
	v_mul_f32_e32 v48, 0x43e00000, v48                         // 00000001FB74: 0A6060FF 43E00000
	v_mul_f32_e32 v144, v48, v240                              // 00000001FB7C: 0B21E130
	v_mul_f32_e32 v145, v48, v241                              // 00000001FB80: 0B23E330
	v_mul_f32_e32 v146, v48, v242                              // 00000001FB84: 0B25E530
	v_mul_f32_e32 v147, v48, v243                              // 00000001FB88: 0B27E730
	v_mul_f32_e32 v148, v48, v244                              // 00000001FB8C: 0B29E930
	v_mul_f32_e32 v149, v48, v245                              // 00000001FB90: 0B2BEB30
	v_mul_f32_e32 v150, v48, v246                              // 00000001FB94: 0B2DED30
	v_mul_f32_e32 v151, v48, v247                              // 00000001FB98: 0B2FEF30
	v_mul_f32_e32 v152, v48, v248                              // 00000001FB9C: 0B31F130
	v_mul_f32_e32 v153, v48, v249                              // 00000001FBA0: 0B33F330
	v_mul_f32_e32 v154, v48, v250                              // 00000001FBA4: 0B35F530
	v_mul_f32_e32 v155, v48, v251                              // 00000001FBA8: 0B37F730
	v_mul_f32_e32 v156, v48, v252                              // 00000001FBAC: 0B39F930
	v_mul_f32_e32 v157, v48, v253                              // 00000001FBB0: 0B3BFB30
	v_mul_f32_e32 v158, v48, v254                              // 00000001FBB4: 0B3DFD30
	v_mul_f32_e32 v159, v48, v255                              // 00000001FBB8: 0B3FFF30
	v_cvt_pk_fp8_f32 v144, v144, v145                          // 00000001FBBC: D2A20090 00032390
	v_cvt_pk_fp8_f32 v144, v146, v147 op_sel:[0,0,1]           // 00000001FBC4: D2A24090 00032792
	v_cvt_pk_fp8_f32 v145, v148, v149                          // 00000001FBCC: D2A20091 00032B94
	v_cvt_pk_fp8_f32 v145, v150, v151 op_sel:[0,0,1]           // 00000001FBD4: D2A24091 00032F96
	v_cvt_pk_fp8_f32 v146, v152, v153                          // 00000001FBDC: D2A20092 00033398
	v_cvt_pk_fp8_f32 v146, v154, v155 op_sel:[0,0,1]           // 00000001FBE4: D2A24092 0003379A
	v_cvt_pk_fp8_f32 v147, v156, v157                          // 00000001FBEC: D2A20093 00033B9C
	v_cvt_pk_fp8_f32 v147, v158, v159 op_sel:[0,0,1]           // 00000001FBF4: D2A24093 00033F9E
	ds_write_b32 v10, v144 offset:33280                        // 00000001FBFC: D81A8200 0000900A
	ds_write_b32 v10, v145 offset:34304                        // 00000001FC04: D81A8600 0000910A
	ds_write_b32 v10, v146 offset:35328                        // 00000001FC0C: D81A8A00 0000920A
	ds_write_b32 v10, v147 offset:36352                        // 00000001FC14: D81A8E00 0000930A
	v_add_f32_e32 v224, v224, v192                             // 00000001FC1C: 03C181E0
	v_add_f32_e32 v225, v225, v193                             // 00000001FC20: 03C383E1
	v_add_f32_e32 v226, v226, v194                             // 00000001FC24: 03C585E2
	v_add_f32_e32 v227, v227, v195                             // 00000001FC28: 03C787E3
	v_add_f32_e32 v228, v228, v196                             // 00000001FC2C: 03C989E4
	v_add_f32_e32 v229, v229, v197                             // 00000001FC30: 03CB8BE5
	v_add_f32_e32 v230, v230, v198                             // 00000001FC34: 03CD8DE6
	v_add_f32_e32 v231, v231, v199                             // 00000001FC38: 03CF8FE7
	v_rcp_f32_e32 v46, v48                                     // 00000001FC3C: 7E5C4530
	s_waitcnt lgkmcnt(0)                                       // 00000001FC40: BF8CC07F
	s_barrier                                                  // 00000001FC44: BF8A0000
	ds_read_b64 v[144:145], v9 offset:33280                    // 00000001FC48: D8EC8200 90000009
	ds_read_b64 v[146:147], v9 offset:33408                    // 00000001FC50: D8EC8280 92000009
	ds_read_b64 v[148:149], v9 offset:34304                    // 00000001FC58: D8EC8600 94000009
	ds_read_b64 v[150:151], v9 offset:34432                    // 00000001FC60: D8EC8680 96000009
	ds_read_b64 v[152:153], v9 offset:35328                    // 00000001FC68: D8EC8A00 98000009
	ds_read_b64 v[154:155], v9 offset:35456                    // 00000001FC70: D8EC8A80 9A000009
	ds_read_b64 v[156:157], v9 offset:36352                    // 00000001FC78: D8EC8E00 9C000009
	ds_read_b64 v[158:159], v9 offset:36480                    // 00000001FC80: D8EC8E80 9E000009
	v_mov_b32_dpp v64, v42 row_shr:4 row_mask:0xf bank_mask:0xf// 00000001FC88: 7E8002FA FF01142A
	v_mov_b32_dpp v65, v42 row_shl:4 row_mask:0xf bank_mask:0xf// 00000001FC90: 7E8202FA FF01042A
	v_cndmask_b32_e64 v248, v42, v64, s[44:45]                 // 00000001FC98: D10000F8 00B2812A
	v_cndmask_b32_e64 v249, v65, v42, s[44:45]                 // 00000001FCA0: D10000F9 00B25541
	v_mov_b32_dpp v64, v248 row_shr:8 row_mask:0xf bank_mask:0xf// 00000001FCA8: 7E8002FA FF0118F8
	v_mov_b32_dpp v65, v248 row_shl:8 row_mask:0xf bank_mask:0xf// 00000001FCB0: 7E8202FA FF0108F8
	v_mov_b32_dpp v66, v249 row_shr:8 row_mask:0xf bank_mask:0xf// 00000001FCB8: 7E8402FA FF0118F9
	v_mov_b32_dpp v67, v249 row_shl:8 row_mask:0xf bank_mask:0xf// 00000001FCC0: 7E8602FA FF0108F9
	v_mov_b32_e32 v68, v248                                    // 00000001FCC8: 7E8803F8
	v_mov_b32_e32 v69, v249                                    // 00000001FCCC: 7E8A03F9
	v_cndmask_b32_e64 v248, v68, v64, s[42:43]                 // 00000001FCD0: D10000F8 00AA8144
	v_cndmask_b32_e64 v250, v68, v65, s[78:79]                 // 00000001FCD8: D10000FA 013A8344
	v_cndmask_b32_e64 v249, v69, v66, s[42:43]                 // 00000001FCE0: D10000F9 00AA8545
	v_cndmask_b32_e64 v251, v69, v67, s[78:79]                 // 00000001FCE8: D10000FB 013A8745
	v_mov_b32_dpp v64, v57 row_shr:4 row_mask:0xf bank_mask:0xf// 00000001FCF0: 7E8002FA FF011439
	v_mov_b32_dpp v65, v57 row_shl:4 row_mask:0xf bank_mask:0xf// 00000001FCF8: 7E8202FA FF010439
	v_cndmask_b32_e64 v252, v57, v64, s[44:45]                 // 00000001FD00: D10000FC 00B28139
	v_cndmask_b32_e64 v253, v65, v57, s[44:45]                 // 00000001FD08: D10000FD 00B27341
	v_mov_b32_dpp v64, v252 row_shr:8 row_mask:0xf bank_mask:0xf// 00000001FD10: 7E8002FA FF0118FC
	v_mov_b32_dpp v65, v252 row_shl:8 row_mask:0xf bank_mask:0xf// 00000001FD18: 7E8202FA FF0108FC
	v_mov_b32_dpp v66, v253 row_shr:8 row_mask:0xf bank_mask:0xf// 00000001FD20: 7E8402FA FF0118FD
	v_mov_b32_dpp v67, v253 row_shl:8 row_mask:0xf bank_mask:0xf// 00000001FD28: 7E8602FA FF0108FD
	v_mov_b32_e32 v68, v252                                    // 00000001FD30: 7E8803FC
	v_mov_b32_e32 v69, v253                                    // 00000001FD34: 7E8A03FD
	v_cndmask_b32_e64 v252, v68, v64, s[42:43]                 // 00000001FD38: D10000FC 00AA8144
	v_cndmask_b32_e64 v254, v68, v65, s[78:79]                 // 00000001FD40: D10000FE 013A8344
	v_cndmask_b32_e64 v253, v69, v66, s[42:43]                 // 00000001FD48: D10000FD 00AA8545
	v_cndmask_b32_e64 v255, v69, v67, s[78:79]                 // 00000001FD50: D10000FF 013A8745
	v_mul_f32_e32 v160, v21, v160                              // 00000001FD58: 0B414115
	v_mul_f32_e32 v161, v21, v161                              // 00000001FD5C: 0B434315
	v_mul_f32_e32 v162, v21, v162                              // 00000001FD60: 0B454515
	v_mul_f32_e32 v163, v21, v163                              // 00000001FD64: 0B474715
	v_mul_f32_e32 v164, v21, v164                              // 00000001FD68: 0B494915
	v_mul_f32_e32 v165, v21, v165                              // 00000001FD6C: 0B4B4B15
	v_mul_f32_e32 v166, v21, v166                              // 00000001FD70: 0B4D4D15
	v_mul_f32_e32 v167, v21, v167                              // 00000001FD74: 0B4F4F15
	v_mul_f32_e32 v168, v21, v168                              // 00000001FD78: 0B515115
	v_mul_f32_e32 v169, v21, v169                              // 00000001FD7C: 0B535315
	v_mul_f32_e32 v170, v21, v170                              // 00000001FD80: 0B555515
	v_mul_f32_e32 v171, v21, v171                              // 00000001FD84: 0B575715
	v_mul_f32_e32 v172, v21, v172                              // 00000001FD88: 0B595915
	v_mul_f32_e32 v173, v21, v173                              // 00000001FD8C: 0B5B5B15
	v_mul_f32_e32 v174, v21, v174                              // 00000001FD90: 0B5D5D15
	v_mul_f32_e32 v175, v21, v175                              // 00000001FD94: 0B5F5F15
	v_mul_f32_dpp v160, v248, v160 quad_perm:[0,0,0,0] row_mask:0xf bank_mask:0xf// 00000001FD98: 0B4140FA FF0000F8
	v_mul_f32_dpp v161, v248, v161 quad_perm:[1,1,1,1] row_mask:0xf bank_mask:0xf// 00000001FDA0: 0B4342FA FF0055F8
	v_mul_f32_dpp v162, v248, v162 quad_perm:[2,2,2,2] row_mask:0xf bank_mask:0xf// 00000001FDA8: 0B4544FA FF00AAF8
	v_mul_f32_dpp v163, v248, v163 quad_perm:[3,3,3,3] row_mask:0xf bank_mask:0xf// 00000001FDB0: 0B4746FA FF00FFF8
	v_mul_f32_dpp v164, v249, v164 quad_perm:[0,0,0,0] row_mask:0xf bank_mask:0xf// 00000001FDB8: 0B4948FA FF0000F9
	v_mul_f32_dpp v165, v249, v165 quad_perm:[1,1,1,1] row_mask:0xf bank_mask:0xf// 00000001FDC0: 0B4B4AFA FF0055F9
	v_mul_f32_dpp v166, v249, v166 quad_perm:[2,2,2,2] row_mask:0xf bank_mask:0xf// 00000001FDC8: 0B4D4CFA FF00AAF9
	v_mul_f32_dpp v167, v249, v167 quad_perm:[3,3,3,3] row_mask:0xf bank_mask:0xf// 00000001FDD0: 0B4F4EFA FF00FFF9
	v_mul_f32_dpp v168, v250, v168 quad_perm:[0,0,0,0] row_mask:0xf bank_mask:0xf// 00000001FDD8: 0B5150FA FF0000FA
	v_mul_f32_dpp v169, v250, v169 quad_perm:[1,1,1,1] row_mask:0xf bank_mask:0xf// 00000001FDE0: 0B5352FA FF0055FA
	v_mul_f32_dpp v170, v250, v170 quad_perm:[2,2,2,2] row_mask:0xf bank_mask:0xf// 00000001FDE8: 0B5554FA FF00AAFA
	v_mul_f32_dpp v171, v250, v171 quad_perm:[3,3,3,3] row_mask:0xf bank_mask:0xf// 00000001FDF0: 0B5756FA FF00FFFA
	v_mul_f32_dpp v172, v251, v172 quad_perm:[0,0,0,0] row_mask:0xf bank_mask:0xf// 00000001FDF8: 0B5958FA FF0000FB
	v_mul_f32_dpp v173, v251, v173 quad_perm:[1,1,1,1] row_mask:0xf bank_mask:0xf// 00000001FE00: 0B5B5AFA FF0055FB
	v_mul_f32_dpp v174, v251, v174 quad_perm:[2,2,2,2] row_mask:0xf bank_mask:0xf// 00000001FE08: 0B5D5CFA FF00AAFB
	v_mul_f32_dpp v175, v251, v175 quad_perm:[3,3,3,3] row_mask:0xf bank_mask:0xf// 00000001FE10: 0B5F5EFA FF00FFFB
	s_cmp_le_i32 s90, s89                                      // 00000001FE18: BF05595A
	s_cbranch_scc1 label_7779                                  // 00000001FE1C: BF850071
	v_mov_b32_e32 v66, 0xff800000                              // 00000001FE20: 7E8402FF FF800000
	s_mov_b32 s60, s90                                         // 00000001FE28: BEBC005A
	s_add_u32 s61, s89, 0xff                                   // 00000001FE2C: 803DFF59 000000FF
	v_mov_b32_e32 v64, s61                                     // 00000001FE34: 7E80023D
	v_lshrrev_b32_e32 v240, 4, v0                              // 00000001FE38: 21E00084
	v_mul_i32_i24_e32 v240, 4, v240                            // 00000001FE3C: 0DE1E084
	v_add_u32_e32 v240, s60, v240                              // 00000001FE40: 69E1E03C
	s_mov_b32 s61, 3                                           // 00000001FE44: BEBD0083
	s_mul_i32 s60, 16, s7                                      // 00000001FE48: 923C0790
	v_sub_u32_e64 v240, v240, s61                              // 00000001FE4C: D13500F0 00007BF0
	v_add_u32_e32 v240, s60, v240                              // 00000001FE54: 69E1E03C
	v_add_u32_e32 v241, 1, v240                                // 00000001FE58: 69E3E081
	v_add_u32_e32 v242, 2, v240                                // 00000001FE5C: 69E5E082
	v_add_u32_e32 v243, 3, v240                                // 00000001FE60: 69E7E083
	v_cmp_le_u32_e64 s[40:41], v240, v64                       // 00000001FE64: D0CB0028 000281F0
	v_add_u32_e32 v240, 64, v240                               // 00000001FE6C: 69E1E0C0
	s_nop 0                                                    // 00000001FE70: BF800000
	v_cndmask_b32_e64 v160, v66, v160, s[40:41]                // 00000001FE74: D10000A0 00A34142
	v_cmp_le_u32_e64 s[40:41], v241, v64                       // 00000001FE7C: D0CB0028 000281F1
	v_add_u32_e32 v241, 64, v241                               // 00000001FE84: 69E3E2C0
	s_nop 0                                                    // 00000001FE88: BF800000
	v_cndmask_b32_e64 v161, v66, v161, s[40:41]                // 00000001FE8C: D10000A1 00A34342
	v_cmp_le_u32_e64 s[40:41], v242, v64                       // 00000001FE94: D0CB0028 000281F2
	v_add_u32_e32 v242, 64, v242                               // 00000001FE9C: 69E5E4C0
	s_nop 0                                                    // 00000001FEA0: BF800000
	v_cndmask_b32_e64 v162, v66, v162, s[40:41]                // 00000001FEA4: D10000A2 00A34542
	v_cmp_le_u32_e64 s[40:41], v243, v64                       // 00000001FEAC: D0CB0028 000281F3
	v_add_u32_e32 v243, 64, v243                               // 00000001FEB4: 69E7E6C0
	s_nop 0                                                    // 00000001FEB8: BF800000
	v_cndmask_b32_e64 v163, v66, v163, s[40:41]                // 00000001FEBC: D10000A3 00A34742
	v_cmp_le_u32_e64 s[40:41], v240, v64                       // 00000001FEC4: D0CB0028 000281F0
	v_add_u32_e32 v240, 64, v240                               // 00000001FECC: 69E1E0C0
	s_nop 0                                                    // 00000001FED0: BF800000
	v_cndmask_b32_e64 v164, v66, v164, s[40:41]                // 00000001FED4: D10000A4 00A34942
	v_cmp_le_u32_e64 s[40:41], v241, v64                       // 00000001FEDC: D0CB0028 000281F1
	v_add_u32_e32 v241, 64, v241                               // 00000001FEE4: 69E3E2C0
	s_nop 0                                                    // 00000001FEE8: BF800000
	v_cndmask_b32_e64 v165, v66, v165, s[40:41]                // 00000001FEEC: D10000A5 00A34B42
	v_cmp_le_u32_e64 s[40:41], v242, v64                       // 00000001FEF4: D0CB0028 000281F2
	v_add_u32_e32 v242, 64, v242                               // 00000001FEFC: 69E5E4C0
	s_nop 0                                                    // 00000001FF00: BF800000
	v_cndmask_b32_e64 v166, v66, v166, s[40:41]                // 00000001FF04: D10000A6 00A34D42
	v_cmp_le_u32_e64 s[40:41], v243, v64                       // 00000001FF0C: D0CB0028 000281F3
	v_add_u32_e32 v243, 64, v243                               // 00000001FF14: 69E7E6C0
	s_nop 0                                                    // 00000001FF18: BF800000
	v_cndmask_b32_e64 v167, v66, v167, s[40:41]                // 00000001FF1C: D10000A7 00A34F42
	v_cmp_le_u32_e64 s[40:41], v240, v64                       // 00000001FF24: D0CB0028 000281F0
	v_add_u32_e32 v240, 64, v240                               // 00000001FF2C: 69E1E0C0
	s_nop 0                                                    // 00000001FF30: BF800000
	v_cndmask_b32_e64 v168, v66, v168, s[40:41]                // 00000001FF34: D10000A8 00A35142
	v_cmp_le_u32_e64 s[40:41], v241, v64                       // 00000001FF3C: D0CB0028 000281F1
	v_add_u32_e32 v241, 64, v241                               // 00000001FF44: 69E3E2C0
	s_nop 0                                                    // 00000001FF48: BF800000
	v_cndmask_b32_e64 v169, v66, v169, s[40:41]                // 00000001FF4C: D10000A9 00A35342
	v_cmp_le_u32_e64 s[40:41], v242, v64                       // 00000001FF54: D0CB0028 000281F2
	v_add_u32_e32 v242, 64, v242                               // 00000001FF5C: 69E5E4C0
	s_nop 0                                                    // 00000001FF60: BF800000
	v_cndmask_b32_e64 v170, v66, v170, s[40:41]                // 00000001FF64: D10000AA 00A35542
	v_cmp_le_u32_e64 s[40:41], v243, v64                       // 00000001FF6C: D0CB0028 000281F3
	v_add_u32_e32 v243, 64, v243                               // 00000001FF74: 69E7E6C0
	s_nop 0                                                    // 00000001FF78: BF800000
	v_cndmask_b32_e64 v171, v66, v171, s[40:41]                // 00000001FF7C: D10000AB 00A35742
	v_cmp_le_u32_e64 s[40:41], v240, v64                       // 00000001FF84: D0CB0028 000281F0
	v_add_u32_e32 v240, 64, v240                               // 00000001FF8C: 69E1E0C0
	s_nop 0                                                    // 00000001FF90: BF800000
	v_cndmask_b32_e64 v172, v66, v172, s[40:41]                // 00000001FF94: D10000AC 00A35942
	v_cmp_le_u32_e64 s[40:41], v241, v64                       // 00000001FF9C: D0CB0028 000281F1
	v_add_u32_e32 v241, 64, v241                               // 00000001FFA4: 69E3E2C0
	s_nop 0                                                    // 00000001FFA8: BF800000
	v_cndmask_b32_e64 v173, v66, v173, s[40:41]                // 00000001FFAC: D10000AD 00A35B42
	v_cmp_le_u32_e64 s[40:41], v242, v64                       // 00000001FFB4: D0CB0028 000281F2
	v_add_u32_e32 v242, 64, v242                               // 00000001FFBC: 69E5E4C0
	s_nop 0                                                    // 00000001FFC0: BF800000
	v_cndmask_b32_e64 v174, v66, v174, s[40:41]                // 00000001FFC4: D10000AE 00A35D42
	v_cmp_le_u32_e64 s[40:41], v243, v64                       // 00000001FFCC: D0CB0028 000281F3
	v_add_u32_e32 v243, 64, v243                               // 00000001FFD4: 69E7E6C0
	s_nop 0                                                    // 00000001FFD8: BF800000
	v_cndmask_b32_e64 v175, v66, v175, s[40:41]                // 00000001FFDC: D10000AF 00A35F42

000000000001ffe4 <label_7779>:
	s_add_u32 s90, s91, s90                                    // 00000001FFE4: 805A5A5B
	v_mov_b32_e32 v48, v160                                    // 00000001FFE8: 7E6003A0
	v_max3_f32 v48, v160, v161, v48                            // 00000001FFEC: D1D30030 04C343A0
	v_max3_f32 v48, v162, v163, v48                            // 00000001FFF4: D1D30030 04C347A2
	v_max3_f32 v48, v164, v165, v48                            // 00000001FFFC: D1D30030 04C34BA4
	v_max3_f32 v48, v166, v167, v48                            // 000000020004: D1D30030 04C34FA6
	v_max3_f32 v48, v168, v169, v48                            // 00000002000C: D1D30030 04C353A8
	v_max3_f32 v48, v170, v171, v48                            // 000000020014: D1D30030 04C357AA
	v_max3_f32 v48, v172, v173, v48                            // 00000002001C: D1D30030 04C35BAC
	v_max3_f32 v48, v174, v175, v48                            // 000000020024: D1D30030 04C35FAE
	ds_write_b32 v8, v48 offset:16896                          // 00000002002C: D81A4200 00003008
	v_mul_f32_e32 v232, v52, v232                              // 000000020034: 0BD1D134
	v_mul_f32_e32 v233, v52, v233                              // 000000020038: 0BD3D334
	v_mul_f32_e32 v234, v52, v234                              // 00000002003C: 0BD5D534
	v_mul_f32_e32 v235, v52, v235                              // 000000020040: 0BD7D734
	v_mul_f32_e32 v236, v52, v236                              // 000000020044: 0BD9D934
	v_mul_f32_e32 v237, v52, v237                              // 000000020048: 0BDBDB34
	v_mul_f32_e32 v238, v52, v238                              // 00000002004C: 0BDDDD34
	v_mul_f32_e32 v239, v52, v239                              // 000000020050: 0BDFDF34
	s_waitcnt lgkmcnt(0)                                       // 000000020054: BF8CC07F
	s_barrier                                                  // 000000020058: BF8A0000
	ds_read_b32 v64, v7 offset:16896                           // 00000002005C: D86C4200 40000007
	ds_read_b32 v65, v7 offset:16960                           // 000000020064: D86C4240 41000007
	ds_read_b32 v66, v7 offset:17024                           // 00000002006C: D86C4280 42000007
	ds_read_b32 v67, v7 offset:17088                           // 000000020074: D86C42C0 43000007
	ds_read_b32 v68, v7 offset:17152                           // 00000002007C: D86C4300 44000007
	ds_read_b32 v69, v7 offset:17216                           // 000000020084: D86C4340 45000007
	ds_read_b32 v70, v7 offset:17280                           // 00000002008C: D86C4380 46000007
	ds_read_b32 v71, v7 offset:17344                           // 000000020094: D86C43C0 47000007
	ds_read_b32 v72, v7 offset:17408                           // 00000002009C: D86C4400 48000007
	ds_read_b32 v73, v7 offset:17472                           // 0000000200A4: D86C4440 49000007
	ds_read_b32 v74, v7 offset:17536                           // 0000000200AC: D86C4480 4A000007
	ds_read_b32 v75, v7 offset:17600                           // 0000000200B4: D86C44C0 4B000007
	ds_read_b32 v76, v7 offset:17664                           // 0000000200BC: D86C4500 4C000007
	ds_read_b32 v77, v7 offset:17728                           // 0000000200C4: D86C4540 4D000007
	ds_read_b32 v78, v7 offset:17792                           // 0000000200CC: D86C4580 4E000007
	ds_read_b32 v79, v7 offset:17856                           // 0000000200D4: D86C45C0 4F000007
	v_mul_f32_e32 v200, v47, v200                              // 0000000200DC: 0B91912F
	v_mul_f32_e32 v201, v47, v201                              // 0000000200E0: 0B93932F
	v_mul_f32_e32 v202, v47, v202                              // 0000000200E4: 0B95952F
	v_mul_f32_e32 v203, v47, v203                              // 0000000200E8: 0B97972F
	v_mul_f32_e32 v204, v47, v204                              // 0000000200EC: 0B99992F
	v_mul_f32_e32 v205, v47, v205                              // 0000000200F0: 0B9B9B2F
	v_mul_f32_e32 v206, v47, v206                              // 0000000200F4: 0B9D9D2F
	v_mul_f32_e32 v207, v47, v207                              // 0000000200F8: 0B9F9F2F
	s_waitcnt lgkmcnt(0)                                       // 0000000200FC: BF8CC07F
	v_max3_f32 v48, v64, v65, v48                              // 000000020100: D1D30030 04C28340
	v_max3_f32 v48, v66, v67, v48                              // 000000020108: D1D30030 04C28742
	v_max3_f32 v48, v68, v69, v48                              // 000000020110: D1D30030 04C28B44
	v_max3_f32 v48, v70, v71, v48                              // 000000020118: D1D30030 04C28F46
	v_max3_f32 v48, v72, v73, v48                              // 000000020120: D1D30030 04C29348
	v_max3_f32 v48, v74, v75, v48                              // 000000020128: D1D30030 04C2974A
	v_max3_f32 v48, v76, v77, v48                              // 000000020130: D1D30030 04C29B4C
	v_max3_f32 v48, v78, v79, v48                              // 000000020138: D1D30030 04C29F4E
	v_mov_b32_e32 v64, 0xff800000                              // 000000020140: 7E8002FF FF800000
	v_cmp_eq_u32_e64 s[40:41], v64, v14                        // 000000020148: D0CA0028 00021D40
	s_nop 1                                                    // 000000020150: BF800001
	v_max_f32_e32 v15, v48, v14                                // 000000020154: 161E1D30
	v_mul_f32_e32 v53, s64, v15                                // 000000020158: 0A6A1E40
	v_fma_f32 v160, v160, s64, -v53                            // 00000002015C: D1CB00A0 84D481A0
	v_fma_f32 v161, v161, s64, -v53                            // 000000020164: D1CB00A1 84D481A1
	v_fma_f32 v162, v162, s64, -v53                            // 00000002016C: D1CB00A2 84D481A2
	v_fma_f32 v163, v163, s64, -v53                            // 000000020174: D1CB00A3 84D481A3
	v_fma_f32 v164, v164, s64, -v53                            // 00000002017C: D1CB00A4 84D481A4
	v_fma_f32 v165, v165, s64, -v53                            // 000000020184: D1CB00A5 84D481A5
	v_fma_f32 v166, v166, s64, -v53                            // 00000002018C: D1CB00A6 84D481A6
	v_fma_f32 v167, v167, s64, -v53                            // 000000020194: D1CB00A7 84D481A7
	v_fma_f32 v168, v168, s64, -v53                            // 00000002019C: D1CB00A8 84D481A8
	v_fma_f32 v169, v169, s64, -v53                            // 0000000201A4: D1CB00A9 84D481A9
	v_fma_f32 v170, v170, s64, -v53                            // 0000000201AC: D1CB00AA 84D481AA
	v_fma_f32 v171, v171, s64, -v53                            // 0000000201B4: D1CB00AB 84D481AB
	v_fma_f32 v172, v172, s64, -v53                            // 0000000201BC: D1CB00AC 84D481AC
	v_fma_f32 v173, v173, s64, -v53                            // 0000000201C4: D1CB00AD 84D481AD
	v_fma_f32 v174, v174, s64, -v53                            // 0000000201CC: D1CB00AE 84D481AE
	v_fma_f32 v175, v175, s64, -v53                            // 0000000201D4: D1CB00AF 84D481AF
	v_exp_f32_e32 v160, v160                                   // 0000000201DC: 7F4041A0
	v_exp_f32_e32 v161, v161                                   // 0000000201E0: 7F4241A1
	v_exp_f32_e32 v162, v162                                   // 0000000201E4: 7F4441A2
	v_exp_f32_e32 v163, v163                                   // 0000000201E8: 7F4641A3
	v_exp_f32_e32 v164, v164                                   // 0000000201EC: 7F4841A4
	v_exp_f32_e32 v165, v165                                   // 0000000201F0: 7F4A41A5
	v_exp_f32_e32 v166, v166                                   // 0000000201F4: 7F4C41A6
	v_exp_f32_e32 v167, v167                                   // 0000000201F8: 7F4E41A7
	v_exp_f32_e32 v168, v168                                   // 0000000201FC: 7F5041A8
	v_exp_f32_e32 v169, v169                                   // 000000020200: 7F5241A9
	v_exp_f32_e32 v170, v170                                   // 000000020204: 7F5441AA
	v_exp_f32_e32 v171, v171                                   // 000000020208: 7F5641AB
	v_exp_f32_e32 v172, v172                                   // 00000002020C: 7F5841AC
	v_exp_f32_e32 v173, v173                                   // 000000020210: 7F5A41AD
	v_exp_f32_e32 v174, v174                                   // 000000020214: 7F5C41AE
	v_exp_f32_e32 v175, v175                                   // 000000020218: 7F5E41AF
	v_mul_f32_dpp v240, v252, v160 quad_perm:[0,0,0,0] row_mask:0xf bank_mask:0xf// 00000002021C: 0BE140FA FF0000FC
	v_mul_f32_dpp v241, v252, v161 quad_perm:[1,1,1,1] row_mask:0xf bank_mask:0xf// 000000020224: 0BE342FA FF0055FC
	v_mul_f32_dpp v242, v252, v162 quad_perm:[2,2,2,2] row_mask:0xf bank_mask:0xf// 00000002022C: 0BE544FA FF00AAFC
	v_mul_f32_dpp v243, v252, v163 quad_perm:[3,3,3,3] row_mask:0xf bank_mask:0xf// 000000020234: 0BE746FA FF00FFFC
	v_mul_f32_dpp v244, v253, v164 quad_perm:[0,0,0,0] row_mask:0xf bank_mask:0xf// 00000002023C: 0BE948FA FF0000FD
	v_mul_f32_dpp v245, v253, v165 quad_perm:[1,1,1,1] row_mask:0xf bank_mask:0xf// 000000020244: 0BEB4AFA FF0055FD
	v_mul_f32_dpp v246, v253, v166 quad_perm:[2,2,2,2] row_mask:0xf bank_mask:0xf// 00000002024C: 0BED4CFA FF00AAFD
	v_mul_f32_dpp v247, v253, v167 quad_perm:[3,3,3,3] row_mask:0xf bank_mask:0xf// 000000020254: 0BEF4EFA FF00FFFD
	v_mul_f32_dpp v248, v254, v168 quad_perm:[0,0,0,0] row_mask:0xf bank_mask:0xf// 00000002025C: 0BF150FA FF0000FE
	v_mul_f32_dpp v249, v254, v169 quad_perm:[1,1,1,1] row_mask:0xf bank_mask:0xf// 000000020264: 0BF352FA FF0055FE
	v_mul_f32_dpp v250, v254, v170 quad_perm:[2,2,2,2] row_mask:0xf bank_mask:0xf// 00000002026C: 0BF554FA FF00AAFE
	v_mul_f32_dpp v251, v254, v171 quad_perm:[3,3,3,3] row_mask:0xf bank_mask:0xf// 000000020274: 0BF756FA FF00FFFE
	v_mul_f32_dpp v252, v255, v172 quad_perm:[0,0,0,0] row_mask:0xf bank_mask:0xf// 00000002027C: 0BF958FA FF0000FF
	v_mul_f32_dpp v253, v255, v173 quad_perm:[1,1,1,1] row_mask:0xf bank_mask:0xf// 000000020284: 0BFB5AFA FF0055FF
	v_mul_f32_dpp v254, v255, v174 quad_perm:[2,2,2,2] row_mask:0xf bank_mask:0xf// 00000002028C: 0BFD5CFA FF00AAFF
	v_mul_f32_dpp v255, v255, v175 quad_perm:[3,3,3,3] row_mask:0xf bank_mask:0xf// 000000020294: 0BFF5EFA FF00FFFF
	v_mov_b32_e32 v48, 0x358637bd                              // 00000002029C: 7E6002FF 358637BD
	v_max3_f32 v48, |v240|, |v241|, v48                        // 0000000202A4: D1D30330 04C3E3F0
	v_max3_f32 v48, |v242|, |v243|, v48                        // 0000000202AC: D1D30330 04C3E7F2
	v_max3_f32 v48, |v244|, |v245|, v48                        // 0000000202B4: D1D30330 04C3EBF4
	v_max3_f32 v48, |v246|, |v247|, v48                        // 0000000202BC: D1D30330 04C3EFF6
	v_max3_f32 v48, |v248|, |v249|, v48                        // 0000000202C4: D1D30330 04C3F3F8
	v_max3_f32 v48, |v250|, |v251|, v48                        // 0000000202CC: D1D30330 04C3F7FA
	v_max3_f32 v48, |v252|, |v253|, v48                        // 0000000202D4: D1D30330 04C3FBFC
	v_max3_f32 v48, |v254|, |v255|, v48                        // 0000000202DC: D1D30330 04C3FFFE
	ds_write_b32 v8, v48 offset:20992                          // 0000000202E4: D81A5200 00003008
	v_sub_f32_e32 v52, v14, v15                                // 0000000202EC: 04681F0E
	v_cndmask_b32_e64 v52, v52, 0, s[40:41]                    // 0000000202F0: D1000034 00A10134
	v_mov_b32_e32 v14, v15                                     // 0000000202F8: 7E1C030F
	v_mul_f32_e32 v52, s64, v52                                // 0000000202FC: 0A686840
	v_exp_f32_e32 v52, v52                                     // 000000020300: 7E684134
	s_waitcnt lgkmcnt(0)                                       // 000000020304: BF8CC07F
	s_barrier                                                  // 000000020308: BF8A0000
	ds_read_b32 v64, v7 offset:20992                           // 00000002030C: D86C5200 40000007
	ds_read_b32 v65, v7 offset:21056                           // 000000020314: D86C5240 41000007
	ds_read_b32 v66, v7 offset:21120                           // 00000002031C: D86C5280 42000007
	ds_read_b32 v67, v7 offset:21184                           // 000000020324: D86C52C0 43000007
	ds_read_b32 v68, v7 offset:21248                           // 00000002032C: D86C5300 44000007
	ds_read_b32 v69, v7 offset:21312                           // 000000020334: D86C5340 45000007
	ds_read_b32 v70, v7 offset:21376                           // 00000002033C: D86C5380 46000007
	ds_read_b32 v71, v7 offset:21440                           // 000000020344: D86C53C0 47000007
	ds_read_b32 v72, v7 offset:21504                           // 00000002034C: D86C5400 48000007
	ds_read_b32 v73, v7 offset:21568                           // 000000020354: D86C5440 49000007
	ds_read_b32 v74, v7 offset:21632                           // 00000002035C: D86C5480 4A000007
	ds_read_b32 v75, v7 offset:21696                           // 000000020364: D86C54C0 4B000007
	ds_read_b32 v76, v7 offset:21760                           // 00000002036C: D86C5500 4C000007
	ds_read_b32 v77, v7 offset:21824                           // 000000020374: D86C5540 4D000007
	ds_read_b32 v78, v7 offset:21888                           // 00000002037C: D86C5580 4E000007
	ds_read_b32 v79, v7 offset:21952                           // 000000020384: D86C55C0 4F000007
	v_mul_f32_e32 v41, v52, v41                                // 00000002038C: 0A525334
	v_mov_b32_e32 v15, v160                                    // 000000020390: 7E1E03A0
	v_add_f32_e32 v15, v161, v15                               // 000000020394: 021E1FA1
	v_add_f32_e32 v15, v162, v15                               // 000000020398: 021E1FA2
	v_add_f32_e32 v15, v163, v15                               // 00000002039C: 021E1FA3
	v_add_f32_e32 v15, v164, v15                               // 0000000203A0: 021E1FA4
	v_add_f32_e32 v15, v165, v15                               // 0000000203A4: 021E1FA5
	v_add_f32_e32 v15, v166, v15                               // 0000000203A8: 021E1FA6
	v_add_f32_e32 v15, v167, v15                               // 0000000203AC: 021E1FA7
	v_add_f32_e32 v15, v168, v15                               // 0000000203B0: 021E1FA8
	v_add_f32_e32 v15, v169, v15                               // 0000000203B4: 021E1FA9
	v_add_f32_e32 v15, v170, v15                               // 0000000203B8: 021E1FAA
	v_add_f32_e32 v15, v171, v15                               // 0000000203BC: 021E1FAB
	v_add_f32_e32 v15, v172, v15                               // 0000000203C0: 021E1FAC
	v_add_f32_e32 v15, v173, v15                               // 0000000203C4: 021E1FAD
	v_add_f32_e32 v15, v174, v15                               // 0000000203C8: 021E1FAE
	v_add_f32_e32 v15, v175, v15                               // 0000000203CC: 021E1FAF
	v_add_f32_e32 v41, v15, v41                                // 0000000203D0: 0252530F
	s_waitcnt lgkmcnt(0)                                       // 0000000203D4: BF8CC07F
	v_max3_f32 v48, |v64|, |v65|, v48                          // 0000000203D8: D1D30330 04C28340
	v_max3_f32 v48, |v66|, |v67|, v48                          // 0000000203E0: D1D30330 04C28742
	v_max3_f32 v48, |v68|, |v69|, v48                          // 0000000203E8: D1D30330 04C28B44
	v_max3_f32 v48, |v70|, |v71|, v48                          // 0000000203F0: D1D30330 04C28F46
	v_max3_f32 v48, |v72|, |v73|, v48                          // 0000000203F8: D1D30330 04C29348
	v_max3_f32 v48, |v74|, |v75|, v48                          // 000000020400: D1D30330 04C2974A
	v_max3_f32 v48, |v76|, |v77|, v48                          // 000000020408: D1D30330 04C29B4C
	v_max3_f32 v48, |v78|, |v79|, v48                          // 000000020410: D1D30330 04C29F4E
	s_nop 2                                                    // 000000020418: BF800002
	v_rcp_f32_e32 v48, v48                                     // 00000002041C: 7E604530
	s_nop 1                                                    // 000000020420: BF800001
	v_mul_f32_e32 v48, 0x43e00000, v48                         // 000000020424: 0A6060FF 43E00000
	v_mul_f32_e32 v160, v48, v240                              // 00000002042C: 0B41E130
	v_mul_f32_e32 v161, v48, v241                              // 000000020430: 0B43E330
	v_mul_f32_e32 v162, v48, v242                              // 000000020434: 0B45E530
	v_mul_f32_e32 v163, v48, v243                              // 000000020438: 0B47E730
	v_mul_f32_e32 v164, v48, v244                              // 00000002043C: 0B49E930
	v_mul_f32_e32 v165, v48, v245                              // 000000020440: 0B4BEB30
	v_mul_f32_e32 v166, v48, v246                              // 000000020444: 0B4DED30
	v_mul_f32_e32 v167, v48, v247                              // 000000020448: 0B4FEF30
	v_mul_f32_e32 v168, v48, v248                              // 00000002044C: 0B51F130
	v_mul_f32_e32 v169, v48, v249                              // 000000020450: 0B53F330
	v_mul_f32_e32 v170, v48, v250                              // 000000020454: 0B55F530
	v_mul_f32_e32 v171, v48, v251                              // 000000020458: 0B57F730
	v_mul_f32_e32 v172, v48, v252                              // 00000002045C: 0B59F930
	v_mul_f32_e32 v173, v48, v253                              // 000000020460: 0B5BFB30
	v_mul_f32_e32 v174, v48, v254                              // 000000020464: 0B5DFD30
	v_mul_f32_e32 v175, v48, v255                              // 000000020468: 0B5FFF30
	v_cvt_pk_fp8_f32 v160, v160, v161                          // 00000002046C: D2A200A0 000343A0
	v_cvt_pk_fp8_f32 v160, v162, v163 op_sel:[0,0,1]           // 000000020474: D2A240A0 000347A2
	v_cvt_pk_fp8_f32 v161, v164, v165                          // 00000002047C: D2A200A1 00034BA4
	v_cvt_pk_fp8_f32 v161, v166, v167 op_sel:[0,0,1]           // 000000020484: D2A240A1 00034FA6
	v_cvt_pk_fp8_f32 v162, v168, v169                          // 00000002048C: D2A200A2 000353A8
	v_cvt_pk_fp8_f32 v162, v170, v171 op_sel:[0,0,1]           // 000000020494: D2A240A2 000357AA
	v_cvt_pk_fp8_f32 v163, v172, v173                          // 00000002049C: D2A200A3 00035BAC
	v_cvt_pk_fp8_f32 v163, v174, v175 op_sel:[0,0,1]           // 0000000204A4: D2A240A3 00035FAE
	ds_write_b32 v10, v160 offset:37376                        // 0000000204AC: D81A9200 0000A00A
	ds_write_b32 v10, v161 offset:38400                        // 0000000204B4: D81A9600 0000A10A
	ds_write_b32 v10, v162 offset:39424                        // 0000000204BC: D81A9A00 0000A20A
	ds_write_b32 v10, v163 offset:40448                        // 0000000204C4: D81A9E00 0000A30A
	v_add_f32_e32 v232, v232, v200                             // 0000000204CC: 03D191E8
	v_add_f32_e32 v233, v233, v201                             // 0000000204D0: 03D393E9
	v_add_f32_e32 v234, v234, v202                             // 0000000204D4: 03D595EA
	v_add_f32_e32 v235, v235, v203                             // 0000000204D8: 03D797EB
	v_add_f32_e32 v236, v236, v204                             // 0000000204DC: 03D999EC
	v_add_f32_e32 v237, v237, v205                             // 0000000204E0: 03DB9BED
	v_add_f32_e32 v238, v238, v206                             // 0000000204E4: 03DD9DEE
	v_add_f32_e32 v239, v239, v207                             // 0000000204E8: 03DF9FEF
	v_rcp_f32_e32 v47, v48                                     // 0000000204EC: 7E5E4530
	s_waitcnt lgkmcnt(0)                                       // 0000000204F0: BF8CC07F
	s_barrier                                                  // 0000000204F4: BF8A0000
	ds_read_b64 v[160:161], v9 offset:37376                    // 0000000204F8: D8EC9200 A0000009
	ds_read_b64 v[162:163], v9 offset:37504                    // 000000020500: D8EC9280 A2000009
	ds_read_b64 v[164:165], v9 offset:38400                    // 000000020508: D8EC9600 A4000009
	ds_read_b64 v[166:167], v9 offset:38528                    // 000000020510: D8EC9680 A6000009
	ds_read_b64 v[168:169], v9 offset:39424                    // 000000020518: D8EC9A00 A8000009
	ds_read_b64 v[170:171], v9 offset:39552                    // 000000020520: D8EC9A80 AA000009
	ds_read_b64 v[172:173], v9 offset:40448                    // 000000020528: D8EC9E00 AC000009
	ds_read_b64 v[174:175], v9 offset:40576                    // 000000020530: D8EC9E80 AE000009
	s_waitcnt vmcnt(15)                                        // 000000020538: BF8C0F7F
	v_mfma_f32_16x16x32_fp8_fp8 v[176:179], a[64:65], v[112:113], 0// 00000002053C: D3F300B0 0A02E140
	v_mfma_f32_16x16x32_fp8_fp8 v[176:179], a[66:67], v[114:115], v[176:179]// 000000020544: D3F300B0 0EC2E542
	buffer_load_dwordx4 a[112:115], v34, s[20:23], 0 offen offset:1024// 00000002054C: E05C1400 80857022
	v_mfma_f32_16x16x32_fp8_fp8 v[176:179], a[68:69], v[116:117], v[176:179]// 000000020554: D3F300B0 0EC2E944
	v_mfma_f32_16x16x32_fp8_fp8 v[176:179], a[70:71], v[118:119], v[176:179]// 00000002055C: D3F300B0 0EC2ED46
	v_mfma_f32_16x16x32_fp8_fp8 v[176:179], a[72:73], v[120:121], v[176:179]// 000000020564: D3F300B0 0EC2F148
	v_mfma_f32_16x16x32_fp8_fp8 v[176:179], a[74:75], v[122:123], v[176:179]// 00000002056C: D3F300B0 0EC2F54A
	buffer_load_dwordx4 a[116:119], v35, s[20:23], 0 offen offset:1024// 000000020574: E05C1400 80857423
	v_mfma_f32_16x16x32_fp8_fp8 v[176:179], a[76:77], v[124:125], v[176:179]// 00000002057C: D3F300B0 0EC2F94C
	v_mfma_f32_16x16x32_fp8_fp8 v[176:179], a[78:79], v[126:127], v[176:179]// 000000020584: D3F300B0 0EC2FD4E
	v_mfma_f32_16x16x32_fp8_fp8 v[180:183], a[80:81], v[112:113], 0// 00000002058C: D3F300B4 0A02E150
	v_mfma_f32_16x16x32_fp8_fp8 v[180:183], a[82:83], v[114:115], v[180:183]// 000000020594: D3F300B4 0ED2E552
	buffer_load_dwordx4 a[120:123], v36, s[20:23], 0 offen offset:1024// 00000002059C: E05C1400 80857824
	v_mfma_f32_16x16x32_fp8_fp8 v[180:183], a[84:85], v[116:117], v[180:183]// 0000000205A4: D3F300B4 0ED2E954
	v_mfma_f32_16x16x32_fp8_fp8 v[180:183], a[86:87], v[118:119], v[180:183]// 0000000205AC: D3F300B4 0ED2ED56
	v_mfma_f32_16x16x32_fp8_fp8 v[180:183], a[88:89], v[120:121], v[180:183]// 0000000205B4: D3F300B4 0ED2F158
	v_mfma_f32_16x16x32_fp8_fp8 v[180:183], a[90:91], v[122:123], v[180:183]// 0000000205BC: D3F300B4 0ED2F55A
	buffer_load_dwordx4 a[124:127], v37, s[20:23], 0 offen offset:1024// 0000000205C4: E05C1400 80857C25
	v_mfma_f32_16x16x32_fp8_fp8 v[180:183], a[92:93], v[124:125], v[180:183]// 0000000205CC: D3F300B4 0ED2F95C
	s_lshr_b32 s57, s70, 4                                     // 0000000205D4: 8F398446
	s_add_u32 s57, 48, s57                                     // 0000000205D8: 803939B0
	v_mfma_f32_16x16x32_fp8_fp8 v[180:183], a[94:95], v[126:127], v[180:183]// 0000000205DC: D3F300B4 0ED2FD5E
	s_cmp_ge_u32 s57, s73                                      // 0000000205E4: BF094939
	s_cselect_b32 s56, 0, s56                                  // 0000000205E8: 85383880
	v_mfma_f32_16x16x32_fp8_fp8 v[184:187], a[64:65], v[128:129], 0// 0000000205EC: D3F300B8 0A030140
	v_mfma_f32_16x16x32_fp8_fp8 v[184:187], a[66:67], v[130:131], v[184:187]// 0000000205F4: D3F300B8 0EE30542
	v_mfma_f32_16x16x32_fp8_fp8 v[184:187], a[68:69], v[132:133], v[184:187]// 0000000205FC: D3F300B8 0EE30944
	v_mfma_f32_16x16x32_fp8_fp8 v[184:187], a[70:71], v[134:135], v[184:187]// 000000020604: D3F300B8 0EE30D46
	v_mfma_f32_16x16x32_fp8_fp8 v[184:187], a[72:73], v[136:137], v[184:187]// 00000002060C: D3F300B8 0EE31148
	v_mfma_f32_16x16x32_fp8_fp8 v[184:187], a[74:75], v[138:139], v[184:187]// 000000020614: D3F300B8 0EE3154A
	v_mfma_f32_16x16x32_fp8_fp8 v[184:187], a[76:77], v[140:141], v[184:187]// 00000002061C: D3F300B8 0EE3194C
	v_mfma_f32_16x16x32_fp8_fp8 v[184:187], a[78:79], v[142:143], v[184:187]// 000000020624: D3F300B8 0EE31D4E
	v_mfma_f32_16x16x32_fp8_fp8 v[188:191], a[80:81], v[128:129], 0// 00000002062C: D3F300BC 0A030150
	v_mfma_f32_16x16x32_fp8_fp8 v[188:191], a[82:83], v[130:131], v[188:191]// 000000020634: D3F300BC 0EF30552
	v_mfma_f32_16x16x32_fp8_fp8 v[188:191], a[84:85], v[132:133], v[188:191]// 00000002063C: D3F300BC 0EF30954
	v_mfma_f32_16x16x32_fp8_fp8 v[188:191], a[86:87], v[134:135], v[188:191]// 000000020644: D3F300BC 0EF30D56
	v_mfma_f32_16x16x32_fp8_fp8 v[188:191], a[88:89], v[136:137], v[188:191]// 00000002064C: D3F300BC 0EF31158
	v_mfma_f32_16x16x32_fp8_fp8 v[188:191], a[90:91], v[138:139], v[188:191]// 000000020654: D3F300BC 0EF3155A
	v_mfma_f32_16x16x32_fp8_fp8 v[188:191], a[92:93], v[140:141], v[188:191]// 00000002065C: D3F300BC 0EF3195C
	v_mfma_f32_16x16x32_fp8_fp8 v[188:191], a[94:95], v[142:143], v[188:191]// 000000020664: D3F300BC 0EF31D5E
	v_mfma_f32_16x16x32_fp8_fp8 v[192:195], a[64:65], v[144:145], 0// 00000002066C: D3F300C0 0A032140
	v_mfma_f32_16x16x32_fp8_fp8 v[192:195], a[66:67], v[146:147], v[192:195]// 000000020674: D3F300C0 0F032542
	v_mfma_f32_16x16x32_fp8_fp8 v[192:195], a[68:69], v[148:149], v[192:195]// 00000002067C: D3F300C0 0F032944
	v_mfma_f32_16x16x32_fp8_fp8 v[192:195], a[70:71], v[150:151], v[192:195]// 000000020684: D3F300C0 0F032D46
	v_mfma_f32_16x16x32_fp8_fp8 v[192:195], a[72:73], v[152:153], v[192:195]// 00000002068C: D3F300C0 0F033148
	v_mfma_f32_16x16x32_fp8_fp8 v[192:195], a[74:75], v[154:155], v[192:195]// 000000020694: D3F300C0 0F03354A
	v_mfma_f32_16x16x32_fp8_fp8 v[192:195], a[76:77], v[156:157], v[192:195]// 00000002069C: D3F300C0 0F03394C
	v_mfma_f32_16x16x32_fp8_fp8 v[192:195], a[78:79], v[158:159], v[192:195]// 0000000206A4: D3F300C0 0F033D4E
	v_mfma_f32_16x16x32_fp8_fp8 v[196:199], a[80:81], v[144:145], 0// 0000000206AC: D3F300C4 0A032150
	v_mfma_f32_16x16x32_fp8_fp8 v[196:199], a[82:83], v[146:147], v[196:199]// 0000000206B4: D3F300C4 0F132552
	v_mfma_f32_16x16x32_fp8_fp8 v[196:199], a[84:85], v[148:149], v[196:199]// 0000000206BC: D3F300C4 0F132954
	v_mfma_f32_16x16x32_fp8_fp8 v[196:199], a[86:87], v[150:151], v[196:199]// 0000000206C4: D3F300C4 0F132D56
	v_mfma_f32_16x16x32_fp8_fp8 v[196:199], a[88:89], v[152:153], v[196:199]// 0000000206CC: D3F300C4 0F133158
	v_mfma_f32_16x16x32_fp8_fp8 v[196:199], a[90:91], v[154:155], v[196:199]// 0000000206D4: D3F300C4 0F13355A
	v_mfma_f32_16x16x32_fp8_fp8 v[196:199], a[92:93], v[156:157], v[196:199]// 0000000206DC: D3F300C4 0F13395C
	v_mfma_f32_16x16x32_fp8_fp8 v[196:199], a[94:95], v[158:159], v[196:199]// 0000000206E4: D3F300C4 0F133D5E
	v_mfma_f32_16x16x32_fp8_fp8 v[200:203], a[64:65], v[160:161], 0// 0000000206EC: D3F300C8 0A034140
	v_mfma_f32_16x16x32_fp8_fp8 v[200:203], a[66:67], v[162:163], v[200:203]// 0000000206F4: D3F300C8 0F234542
	v_mfma_f32_16x16x32_fp8_fp8 v[200:203], a[68:69], v[164:165], v[200:203]// 0000000206FC: D3F300C8 0F234944
	v_mfma_f32_16x16x32_fp8_fp8 v[200:203], a[70:71], v[166:167], v[200:203]// 000000020704: D3F300C8 0F234D46
	v_mfma_f32_16x16x32_fp8_fp8 v[200:203], a[72:73], v[168:169], v[200:203]// 00000002070C: D3F300C8 0F235148
	v_mfma_f32_16x16x32_fp8_fp8 v[200:203], a[74:75], v[170:171], v[200:203]// 000000020714: D3F300C8 0F23554A
	v_mfma_f32_16x16x32_fp8_fp8 v[200:203], a[76:77], v[172:173], v[200:203]// 00000002071C: D3F300C8 0F23594C
	v_mfma_f32_16x16x32_fp8_fp8 v[200:203], a[78:79], v[174:175], v[200:203]// 000000020724: D3F300C8 0F235D4E
	v_mfma_f32_16x16x32_fp8_fp8 v[204:207], a[80:81], v[160:161], 0// 00000002072C: D3F300CC 0A034150
	v_mfma_f32_16x16x32_fp8_fp8 v[204:207], a[82:83], v[162:163], v[204:207]// 000000020734: D3F300CC 0F334552
	v_mfma_f32_16x16x32_fp8_fp8 v[204:207], a[84:85], v[164:165], v[204:207]// 00000002073C: D3F300CC 0F334954
	v_mfma_f32_16x16x32_fp8_fp8 v[204:207], a[86:87], v[166:167], v[204:207]// 000000020744: D3F300CC 0F334D56
	v_mfma_f32_16x16x32_fp8_fp8 v[204:207], a[88:89], v[168:169], v[204:207]// 00000002074C: D3F300CC 0F335158
	v_mfma_f32_16x16x32_fp8_fp8 v[204:207], a[90:91], v[170:171], v[204:207]// 000000020754: D3F300CC 0F33555A
	v_mfma_f32_16x16x32_fp8_fp8 v[204:207], a[92:93], v[172:173], v[204:207]// 00000002075C: D3F300CC 0F33595C
	v_mfma_f32_16x16x32_fp8_fp8 v[204:207], a[94:95], v[174:175], v[204:207]// 000000020764: D3F300CC 0F335D5E
	v_add_u32_e32 v1, s56, v1                                  // 00000002076C: 68020238
	s_addk_i32 s70, 0x100                                      // 000000020770: B7460100
	s_cmp_lt_i32 s70, s71                                      // 000000020774: BF044746
	s_cbranch_scc0 label_835B                                  // 000000020778: BF8409FC
	s_waitcnt vmcnt(8) lgkmcnt(0)                              // 00000002077C: BF8C0078
	v_mul_u32_u24_dpp v64, v16, v54 row_newbcast:0 row_mask:0xf bank_mask:0xf// 000000020780: 10806CFA FF015010
	v_mul_u32_u24_dpp v65, v16, v54 row_newbcast:4 row_mask:0xf bank_mask:0xf// 000000020788: 10826CFA FF015410
	v_mul_u32_u24_dpp v66, v16, v54 row_newbcast:8 row_mask:0xf bank_mask:0xf// 000000020790: 10846CFA FF015810
	v_mul_u32_u24_dpp v67, v16, v54 row_newbcast:12 row_mask:0xf bank_mask:0xf// 000000020798: 10866CFA FF015C10
	v_add_u32_e32 v22, v64, v5                                 // 0000000207A0: 682C0B40
	v_add_u32_e32 v23, v65, v5                                 // 0000000207A4: 682E0B41
	v_add_u32_e32 v24, v66, v5                                 // 0000000207A8: 68300B42
	v_add_u32_e32 v25, v67, v5                                 // 0000000207AC: 68320B43
	v_mul_u32_u24_dpp v64, v16, v63 quad_perm:[0,0,0,0] row_mask:0xf bank_mask:0xf// 0000000207B0: 10807EFA FF000010
	v_add_u32_e32 v2, v64, v59                                 // 0000000207B8: 68047740
	v_mul_u32_u24_dpp v64, v16, v63 quad_perm:[0,0,0,0] row_mask:0xf bank_mask:0xf// 0000000207BC: 10807EFA FF000010
	v_add_u32_e32 v55, v64, v60                                // 0000000207C4: 686E7940
	v_mfma_f32_16x16x32_fp8_fp8 v[112:115], a[32:33], v[80:81], 0// 0000000207C8: D3F30070 0A02A120
	v_mfma_f32_16x16x32_fp8_fp8 v[112:115], a[34:35], v[82:83], v[112:115]// 0000000207D0: D3F30070 0DC2A522
	buffer_load_dwordx4 a[0:3], v22, s[16:19], 0 offen         // 0000000207D8: E05C1000 80840016
	v_mfma_f32_16x16x32_fp8_fp8 v[112:115], a[36:37], v[84:85], v[112:115]// 0000000207E0: D3F30070 0DC2A924
	v_mfma_f32_16x16x32_fp8_fp8 v[112:115], a[38:39], v[86:87], v[112:115]// 0000000207E8: D3F30070 0DC2AD26
	buffer_load_dword v17, v1, s[24:27], 0 offen               // 0000000207F0: E0501000 80061101
	v_mfma_f32_16x16x32_fp8_fp8 v[116:119], a[40:41], v[80:81], 0// 0000000207F8: D3F30074 0A02A128
	v_mfma_f32_16x16x32_fp8_fp8 v[116:119], a[42:43], v[82:83], v[116:119]// 000000020800: D3F30074 0DD2A52A
	buffer_load_dwordx4 a[4:7], v22, s[16:19], 0 offen offset:1024// 000000020808: E05C1400 80840416
	v_mfma_f32_16x16x32_fp8_fp8 v[116:119], a[44:45], v[84:85], v[116:119]// 000000020810: D3F30074 0DD2A92C
	v_mfma_f32_16x16x32_fp8_fp8 v[116:119], a[46:47], v[86:87], v[116:119]// 000000020818: D3F30074 0DD2AD2E
	v_mfma_f32_16x16x32_fp8_fp8 v[120:123], a[48:49], v[80:81], 0// 000000020820: D3F30078 0A02A130
	v_mfma_f32_16x16x32_fp8_fp8 v[120:123], a[50:51], v[82:83], v[120:123]// 000000020828: D3F30078 0DE2A532
	buffer_load_dwordx4 a[8:11], v23, s[16:19], 0 offen        // 000000020830: E05C1000 80840817
	v_mfma_f32_16x16x32_fp8_fp8 v[120:123], a[52:53], v[84:85], v[120:123]// 000000020838: D3F30078 0DE2A934
	v_mfma_f32_16x16x32_fp8_fp8 v[120:123], a[54:55], v[86:87], v[120:123]// 000000020840: D3F30078 0DE2AD36
	v_mfma_f32_16x16x32_fp8_fp8 v[124:127], a[56:57], v[80:81], 0// 000000020848: D3F3007C 0A02A138
	v_mfma_f32_16x16x32_fp8_fp8 v[124:127], a[58:59], v[82:83], v[124:127]// 000000020850: D3F3007C 0DF2A53A
	buffer_load_dwordx4 a[12:15], v23, s[16:19], 0 offen offset:1024// 000000020858: E05C1400 80840C17
	v_mfma_f32_16x16x32_fp8_fp8 v[124:127], a[60:61], v[84:85], v[124:127]// 000000020860: D3F3007C 0DF2A93C
	v_mfma_f32_16x16x32_fp8_fp8 v[124:127], a[62:63], v[86:87], v[124:127]// 000000020868: D3F3007C 0DF2AD3E
	v_mfma_f32_16x16x32_fp8_fp8 v[128:131], a[32:33], v[88:89], 0// 000000020870: D3F30080 0A02B120
	v_mfma_f32_16x16x32_fp8_fp8 v[128:131], a[34:35], v[90:91], v[128:131]// 000000020878: D3F30080 0E02B522
	v_mfma_f32_16x16x32_fp8_fp8 v[128:131], a[36:37], v[92:93], v[128:131]// 000000020880: D3F30080 0E02B924
	v_mfma_f32_16x16x32_fp8_fp8 v[128:131], a[38:39], v[94:95], v[128:131]// 000000020888: D3F30080 0E02BD26
	v_mfma_f32_16x16x32_fp8_fp8 v[132:135], a[40:41], v[88:89], 0// 000000020890: D3F30084 0A02B128
	v_mfma_f32_16x16x32_fp8_fp8 v[132:135], a[42:43], v[90:91], v[132:135]// 000000020898: D3F30084 0E12B52A
	v_mfma_f32_16x16x32_fp8_fp8 v[132:135], a[44:45], v[92:93], v[132:135]// 0000000208A0: D3F30084 0E12B92C
	v_mfma_f32_16x16x32_fp8_fp8 v[132:135], a[46:47], v[94:95], v[132:135]// 0000000208A8: D3F30084 0E12BD2E
	v_mfma_f32_16x16x32_fp8_fp8 v[136:139], a[48:49], v[88:89], 0// 0000000208B0: D3F30088 0A02B130
	v_mfma_f32_16x16x32_fp8_fp8 v[136:139], a[50:51], v[90:91], v[136:139]// 0000000208B8: D3F30088 0E22B532
	v_mfma_f32_16x16x32_fp8_fp8 v[136:139], a[52:53], v[92:93], v[136:139]// 0000000208C0: D3F30088 0E22B934
	v_mfma_f32_16x16x32_fp8_fp8 v[136:139], a[54:55], v[94:95], v[136:139]// 0000000208C8: D3F30088 0E22BD36
	v_mfma_f32_16x16x32_fp8_fp8 v[140:143], a[56:57], v[88:89], 0// 0000000208D0: D3F3008C 0A02B138
	v_mfma_f32_16x16x32_fp8_fp8 v[140:143], a[58:59], v[90:91], v[140:143]// 0000000208D8: D3F3008C 0E32B53A
	v_mfma_f32_16x16x32_fp8_fp8 v[140:143], a[60:61], v[92:93], v[140:143]// 0000000208E0: D3F3008C 0E32B93C
	v_mfma_f32_16x16x32_fp8_fp8 v[140:143], a[62:63], v[94:95], v[140:143]// 0000000208E8: D3F3008C 0E32BD3E
	v_mfma_f32_16x16x32_fp8_fp8 v[144:147], a[32:33], v[96:97], 0// 0000000208F0: D3F30090 0A02C120
	v_mfma_f32_16x16x32_fp8_fp8 v[144:147], a[34:35], v[98:99], v[144:147]// 0000000208F8: D3F30090 0E42C522
	v_mfma_f32_16x16x32_fp8_fp8 v[144:147], a[36:37], v[100:101], v[144:147]// 000000020900: D3F30090 0E42C924
	v_mfma_f32_16x16x32_fp8_fp8 v[144:147], a[38:39], v[102:103], v[144:147]// 000000020908: D3F30090 0E42CD26
	v_mfma_f32_16x16x32_fp8_fp8 v[148:151], a[40:41], v[96:97], 0// 000000020910: D3F30094 0A02C128
	v_mfma_f32_16x16x32_fp8_fp8 v[148:151], a[42:43], v[98:99], v[148:151]// 000000020918: D3F30094 0E52C52A
	v_mfma_f32_16x16x32_fp8_fp8 v[148:151], a[44:45], v[100:101], v[148:151]// 000000020920: D3F30094 0E52C92C
	v_mfma_f32_16x16x32_fp8_fp8 v[148:151], a[46:47], v[102:103], v[148:151]// 000000020928: D3F30094 0E52CD2E
	v_mfma_f32_16x16x32_fp8_fp8 v[152:155], a[48:49], v[96:97], 0// 000000020930: D3F30098 0A02C130
	v_mfma_f32_16x16x32_fp8_fp8 v[152:155], a[50:51], v[98:99], v[152:155]// 000000020938: D3F30098 0E62C532
	v_mfma_f32_16x16x32_fp8_fp8 v[152:155], a[52:53], v[100:101], v[152:155]// 000000020940: D3F30098 0E62C934
	v_mfma_f32_16x16x32_fp8_fp8 v[152:155], a[54:55], v[102:103], v[152:155]// 000000020948: D3F30098 0E62CD36
	v_mfma_f32_16x16x32_fp8_fp8 v[156:159], a[56:57], v[96:97], 0// 000000020950: D3F3009C 0A02C138
	v_mfma_f32_16x16x32_fp8_fp8 v[156:159], a[58:59], v[98:99], v[156:159]// 000000020958: D3F3009C 0E72C53A
	v_mfma_f32_16x16x32_fp8_fp8 v[156:159], a[60:61], v[100:101], v[156:159]// 000000020960: D3F3009C 0E72C93C
	v_mfma_f32_16x16x32_fp8_fp8 v[156:159], a[62:63], v[102:103], v[156:159]// 000000020968: D3F3009C 0E72CD3E
	v_mfma_f32_16x16x32_fp8_fp8 v[160:163], a[32:33], v[104:105], 0// 000000020970: D3F300A0 0A02D120
	v_mfma_f32_16x16x32_fp8_fp8 v[160:163], a[34:35], v[106:107], v[160:163]// 000000020978: D3F300A0 0E82D522
	v_mfma_f32_16x16x32_fp8_fp8 v[160:163], a[36:37], v[108:109], v[160:163]// 000000020980: D3F300A0 0E82D924
	v_mfma_f32_16x16x32_fp8_fp8 v[160:163], a[38:39], v[110:111], v[160:163]// 000000020988: D3F300A0 0E82DD26
	v_mfma_f32_16x16x32_fp8_fp8 v[164:167], a[40:41], v[104:105], 0// 000000020990: D3F300A4 0A02D128
	v_mfma_f32_16x16x32_fp8_fp8 v[164:167], a[42:43], v[106:107], v[164:167]// 000000020998: D3F300A4 0E92D52A
	v_mfma_f32_16x16x32_fp8_fp8 v[164:167], a[44:45], v[108:109], v[164:167]// 0000000209A0: D3F300A4 0E92D92C
	v_mfma_f32_16x16x32_fp8_fp8 v[164:167], a[46:47], v[110:111], v[164:167]// 0000000209A8: D3F300A4 0E92DD2E
	v_mfma_f32_16x16x32_fp8_fp8 v[168:171], a[48:49], v[104:105], 0// 0000000209B0: D3F300A8 0A02D130
	v_mfma_f32_16x16x32_fp8_fp8 v[168:171], a[50:51], v[106:107], v[168:171]// 0000000209B8: D3F300A8 0EA2D532
	v_mfma_f32_16x16x32_fp8_fp8 v[168:171], a[52:53], v[108:109], v[168:171]// 0000000209C0: D3F300A8 0EA2D934
	v_mfma_f32_16x16x32_fp8_fp8 v[168:171], a[54:55], v[110:111], v[168:171]// 0000000209C8: D3F300A8 0EA2DD36
	v_mfma_f32_16x16x32_fp8_fp8 v[172:175], a[56:57], v[104:105], 0// 0000000209D0: D3F300AC 0A02D138
	v_mfma_f32_16x16x32_fp8_fp8 v[172:175], a[58:59], v[106:107], v[172:175]// 0000000209D8: D3F300AC 0EB2D53A
	v_mfma_f32_16x16x32_fp8_fp8 v[172:175], a[60:61], v[108:109], v[172:175]// 0000000209E0: D3F300AC 0EB2D93C
	v_mfma_f32_16x16x32_fp8_fp8 v[172:175], a[62:63], v[110:111], v[172:175]// 0000000209E8: D3F300AC 0EB2DD3E
	buffer_load_dword v42, v2, s[32:35], 0 offen               // 0000000209F0: E0501000 80082A02
	v_mov_b32_dpp v64, v43 row_shr:4 row_mask:0xf bank_mask:0xf// 0000000209F8: 7E8002FA FF01142B
	v_mov_b32_dpp v65, v43 row_shl:4 row_mask:0xf bank_mask:0xf// 000000020A00: 7E8202FA FF01042B
	v_cndmask_b32_e64 v248, v43, v64, s[44:45]                 // 000000020A08: D10000F8 00B2812B
	v_cndmask_b32_e64 v249, v65, v43, s[44:45]                 // 000000020A10: D10000F9 00B25741
	v_mov_b32_dpp v64, v248 row_shr:8 row_mask:0xf bank_mask:0xf// 000000020A18: 7E8002FA FF0118F8
	v_mov_b32_dpp v65, v248 row_shl:8 row_mask:0xf bank_mask:0xf// 000000020A20: 7E8202FA FF0108F8
	v_mov_b32_dpp v66, v249 row_shr:8 row_mask:0xf bank_mask:0xf// 000000020A28: 7E8402FA FF0118F9
	v_mov_b32_dpp v67, v249 row_shl:8 row_mask:0xf bank_mask:0xf// 000000020A30: 7E8602FA FF0108F9
	v_mov_b32_e32 v68, v248                                    // 000000020A38: 7E8803F8
	v_mov_b32_e32 v69, v249                                    // 000000020A3C: 7E8A03F9
	v_cndmask_b32_e64 v248, v68, v64, s[42:43]                 // 000000020A40: D10000F8 00AA8144
	v_cndmask_b32_e64 v250, v68, v65, s[78:79]                 // 000000020A48: D10000FA 013A8344
	v_cndmask_b32_e64 v249, v69, v66, s[42:43]                 // 000000020A50: D10000F9 00AA8545
	v_cndmask_b32_e64 v251, v69, v67, s[78:79]                 // 000000020A58: D10000FB 013A8745
	v_mov_b32_dpp v64, v58 row_shr:4 row_mask:0xf bank_mask:0xf// 000000020A60: 7E8002FA FF01143A
	v_mov_b32_dpp v65, v58 row_shl:4 row_mask:0xf bank_mask:0xf// 000000020A68: 7E8202FA FF01043A
	v_cndmask_b32_e64 v252, v58, v64, s[44:45]                 // 000000020A70: D10000FC 00B2813A
	v_cndmask_b32_e64 v253, v65, v58, s[44:45]                 // 000000020A78: D10000FD 00B27541
	v_mov_b32_dpp v64, v252 row_shr:8 row_mask:0xf bank_mask:0xf// 000000020A80: 7E8002FA FF0118FC
	v_mov_b32_dpp v65, v252 row_shl:8 row_mask:0xf bank_mask:0xf// 000000020A88: 7E8202FA FF0108FC
	v_mov_b32_dpp v66, v253 row_shr:8 row_mask:0xf bank_mask:0xf// 000000020A90: 7E8402FA FF0118FD
	v_mov_b32_dpp v67, v253 row_shl:8 row_mask:0xf bank_mask:0xf// 000000020A98: 7E8602FA FF0108FD
	v_mov_b32_e32 v68, v252                                    // 000000020AA0: 7E8803FC
	v_mov_b32_e32 v69, v253                                    // 000000020AA4: 7E8A03FD
	v_cndmask_b32_e64 v252, v68, v64, s[42:43]                 // 000000020AA8: D10000FC 00AA8144
	v_cndmask_b32_e64 v254, v68, v65, s[78:79]                 // 000000020AB0: D10000FE 013A8344
	v_cndmask_b32_e64 v253, v69, v66, s[42:43]                 // 000000020AB8: D10000FD 00AA8545
	v_cndmask_b32_e64 v255, v69, v67, s[78:79]                 // 000000020AC0: D10000FF 013A8745
	buffer_load_dword v57, v55, s[36:39], 0 offen              // 000000020AC8: E0501000 80093937
	v_mul_f32_e32 v112, v18, v112                              // 000000020AD0: 0AE0E112
	v_mul_f32_e32 v113, v18, v113                              // 000000020AD4: 0AE2E312
	v_mul_f32_e32 v114, v18, v114                              // 000000020AD8: 0AE4E512
	v_mul_f32_e32 v115, v18, v115                              // 000000020ADC: 0AE6E712
	v_mul_f32_e32 v116, v18, v116                              // 000000020AE0: 0AE8E912
	v_mul_f32_e32 v117, v18, v117                              // 000000020AE4: 0AEAEB12
	v_mul_f32_e32 v118, v18, v118                              // 000000020AE8: 0AECED12
	v_mul_f32_e32 v119, v18, v119                              // 000000020AEC: 0AEEEF12
	v_mul_f32_e32 v120, v18, v120                              // 000000020AF0: 0AF0F112
	v_mul_f32_e32 v121, v18, v121                              // 000000020AF4: 0AF2F312
	v_mul_f32_e32 v122, v18, v122                              // 000000020AF8: 0AF4F512
	v_mul_f32_e32 v123, v18, v123                              // 000000020AFC: 0AF6F712
	v_mul_f32_e32 v124, v18, v124                              // 000000020B00: 0AF8F912
	v_mul_f32_e32 v125, v18, v125                              // 000000020B04: 0AFAFB12
	v_mul_f32_e32 v126, v18, v126                              // 000000020B08: 0AFCFD12
	v_mul_f32_e32 v127, v18, v127                              // 000000020B0C: 0AFEFF12
	buffer_load_dwordx4 a[16:19], v24, s[16:19], 0 offen       // 000000020B10: E05C1000 80841018
	v_mul_f32_dpp v112, v248, v112 quad_perm:[0,0,0,0] row_mask:0xf bank_mask:0xf// 000000020B18: 0AE0E0FA FF0000F8
	v_mul_f32_dpp v113, v248, v113 quad_perm:[1,1,1,1] row_mask:0xf bank_mask:0xf// 000000020B20: 0AE2E2FA FF0055F8
	v_mul_f32_dpp v114, v248, v114 quad_perm:[2,2,2,2] row_mask:0xf bank_mask:0xf// 000000020B28: 0AE4E4FA FF00AAF8
	v_mul_f32_dpp v115, v248, v115 quad_perm:[3,3,3,3] row_mask:0xf bank_mask:0xf// 000000020B30: 0AE6E6FA FF00FFF8
	v_mul_f32_dpp v116, v249, v116 quad_perm:[0,0,0,0] row_mask:0xf bank_mask:0xf// 000000020B38: 0AE8E8FA FF0000F9
	v_mul_f32_dpp v117, v249, v117 quad_perm:[1,1,1,1] row_mask:0xf bank_mask:0xf// 000000020B40: 0AEAEAFA FF0055F9
	v_mul_f32_dpp v118, v249, v118 quad_perm:[2,2,2,2] row_mask:0xf bank_mask:0xf// 000000020B48: 0AECECFA FF00AAF9
	v_mul_f32_dpp v119, v249, v119 quad_perm:[3,3,3,3] row_mask:0xf bank_mask:0xf// 000000020B50: 0AEEEEFA FF00FFF9
	v_mul_f32_dpp v120, v250, v120 quad_perm:[0,0,0,0] row_mask:0xf bank_mask:0xf// 000000020B58: 0AF0F0FA FF0000FA
	v_mul_f32_dpp v121, v250, v121 quad_perm:[1,1,1,1] row_mask:0xf bank_mask:0xf// 000000020B60: 0AF2F2FA FF0055FA
	v_mul_f32_dpp v122, v250, v122 quad_perm:[2,2,2,2] row_mask:0xf bank_mask:0xf// 000000020B68: 0AF4F4FA FF00AAFA
	v_mul_f32_dpp v123, v250, v123 quad_perm:[3,3,3,3] row_mask:0xf bank_mask:0xf// 000000020B70: 0AF6F6FA FF00FFFA
	v_mul_f32_dpp v124, v251, v124 quad_perm:[0,0,0,0] row_mask:0xf bank_mask:0xf// 000000020B78: 0AF8F8FA FF0000FB
	v_mul_f32_dpp v125, v251, v125 quad_perm:[1,1,1,1] row_mask:0xf bank_mask:0xf// 000000020B80: 0AFAFAFA FF0055FB
	v_mul_f32_dpp v126, v251, v126 quad_perm:[2,2,2,2] row_mask:0xf bank_mask:0xf// 000000020B88: 0AFCFCFA FF00AAFB
	v_mul_f32_dpp v127, v251, v127 quad_perm:[3,3,3,3] row_mask:0xf bank_mask:0xf// 000000020B90: 0AFEFEFA FF00FFFB
	buffer_load_dwordx4 a[20:23], v24, s[16:19], 0 offen offset:1024// 000000020B98: E05C1400 80841418
	s_cmp_le_i32 s90, s89                                      // 000000020BA0: BF05595A
	s_cbranch_scc1 label_7ADB                                  // 000000020BA4: BF850071
	v_mov_b32_e32 v66, 0xff800000                              // 000000020BA8: 7E8402FF FF800000
	s_mov_b32 s60, s90                                         // 000000020BB0: BEBC005A
	s_add_u32 s61, s89, 0xff                                   // 000000020BB4: 803DFF59 000000FF
	v_mov_b32_e32 v64, s61                                     // 000000020BBC: 7E80023D
	v_lshrrev_b32_e32 v240, 4, v0                              // 000000020BC0: 21E00084
	v_mul_i32_i24_e32 v240, 4, v240                            // 000000020BC4: 0DE1E084
	v_add_u32_e32 v240, s60, v240                              // 000000020BC8: 69E1E03C
	s_mov_b32 s61, 0                                           // 000000020BCC: BEBD0080
	s_mul_i32 s60, 16, s7                                      // 000000020BD0: 923C0790
	v_sub_u32_e64 v240, v240, s61                              // 000000020BD4: D13500F0 00007BF0
	v_add_u32_e32 v240, s60, v240                              // 000000020BDC: 69E1E03C
	v_add_u32_e32 v241, 1, v240                                // 000000020BE0: 69E3E081
	v_add_u32_e32 v242, 2, v240                                // 000000020BE4: 69E5E082
	v_add_u32_e32 v243, 3, v240                                // 000000020BE8: 69E7E083
	v_cmp_le_u32_e64 s[40:41], v240, v64                       // 000000020BEC: D0CB0028 000281F0
	v_add_u32_e32 v240, 64, v240                               // 000000020BF4: 69E1E0C0
	s_nop 0                                                    // 000000020BF8: BF800000
	v_cndmask_b32_e64 v112, v66, v112, s[40:41]                // 000000020BFC: D1000070 00A2E142
	v_cmp_le_u32_e64 s[40:41], v241, v64                       // 000000020C04: D0CB0028 000281F1
	v_add_u32_e32 v241, 64, v241                               // 000000020C0C: 69E3E2C0
	s_nop 0                                                    // 000000020C10: BF800000
	v_cndmask_b32_e64 v113, v66, v113, s[40:41]                // 000000020C14: D1000071 00A2E342
	v_cmp_le_u32_e64 s[40:41], v242, v64                       // 000000020C1C: D0CB0028 000281F2
	v_add_u32_e32 v242, 64, v242                               // 000000020C24: 69E5E4C0
	s_nop 0                                                    // 000000020C28: BF800000
	v_cndmask_b32_e64 v114, v66, v114, s[40:41]                // 000000020C2C: D1000072 00A2E542
	v_cmp_le_u32_e64 s[40:41], v243, v64                       // 000000020C34: D0CB0028 000281F3
	v_add_u32_e32 v243, 64, v243                               // 000000020C3C: 69E7E6C0
	s_nop 0                                                    // 000000020C40: BF800000
	v_cndmask_b32_e64 v115, v66, v115, s[40:41]                // 000000020C44: D1000073 00A2E742
	v_cmp_le_u32_e64 s[40:41], v240, v64                       // 000000020C4C: D0CB0028 000281F0
	v_add_u32_e32 v240, 64, v240                               // 000000020C54: 69E1E0C0
	s_nop 0                                                    // 000000020C58: BF800000
	v_cndmask_b32_e64 v116, v66, v116, s[40:41]                // 000000020C5C: D1000074 00A2E942
	v_cmp_le_u32_e64 s[40:41], v241, v64                       // 000000020C64: D0CB0028 000281F1
	v_add_u32_e32 v241, 64, v241                               // 000000020C6C: 69E3E2C0
	s_nop 0                                                    // 000000020C70: BF800000
	v_cndmask_b32_e64 v117, v66, v117, s[40:41]                // 000000020C74: D1000075 00A2EB42
	v_cmp_le_u32_e64 s[40:41], v242, v64                       // 000000020C7C: D0CB0028 000281F2
	v_add_u32_e32 v242, 64, v242                               // 000000020C84: 69E5E4C0
	s_nop 0                                                    // 000000020C88: BF800000
	v_cndmask_b32_e64 v118, v66, v118, s[40:41]                // 000000020C8C: D1000076 00A2ED42
	v_cmp_le_u32_e64 s[40:41], v243, v64                       // 000000020C94: D0CB0028 000281F3
	v_add_u32_e32 v243, 64, v243                               // 000000020C9C: 69E7E6C0
	s_nop 0                                                    // 000000020CA0: BF800000
	v_cndmask_b32_e64 v119, v66, v119, s[40:41]                // 000000020CA4: D1000077 00A2EF42
	v_cmp_le_u32_e64 s[40:41], v240, v64                       // 000000020CAC: D0CB0028 000281F0
	v_add_u32_e32 v240, 64, v240                               // 000000020CB4: 69E1E0C0
	s_nop 0                                                    // 000000020CB8: BF800000
	v_cndmask_b32_e64 v120, v66, v120, s[40:41]                // 000000020CBC: D1000078 00A2F142
	v_cmp_le_u32_e64 s[40:41], v241, v64                       // 000000020CC4: D0CB0028 000281F1
	v_add_u32_e32 v241, 64, v241                               // 000000020CCC: 69E3E2C0
	s_nop 0                                                    // 000000020CD0: BF800000
	v_cndmask_b32_e64 v121, v66, v121, s[40:41]                // 000000020CD4: D1000079 00A2F342
	v_cmp_le_u32_e64 s[40:41], v242, v64                       // 000000020CDC: D0CB0028 000281F2
	v_add_u32_e32 v242, 64, v242                               // 000000020CE4: 69E5E4C0
	s_nop 0                                                    // 000000020CE8: BF800000
	v_cndmask_b32_e64 v122, v66, v122, s[40:41]                // 000000020CEC: D100007A 00A2F542
	v_cmp_le_u32_e64 s[40:41], v243, v64                       // 000000020CF4: D0CB0028 000281F3
	v_add_u32_e32 v243, 64, v243                               // 000000020CFC: 69E7E6C0
	s_nop 0                                                    // 000000020D00: BF800000
	v_cndmask_b32_e64 v123, v66, v123, s[40:41]                // 000000020D04: D100007B 00A2F742
	v_cmp_le_u32_e64 s[40:41], v240, v64                       // 000000020D0C: D0CB0028 000281F0
	v_add_u32_e32 v240, 64, v240                               // 000000020D14: 69E1E0C0
	s_nop 0                                                    // 000000020D18: BF800000
	v_cndmask_b32_e64 v124, v66, v124, s[40:41]                // 000000020D1C: D100007C 00A2F942
	v_cmp_le_u32_e64 s[40:41], v241, v64                       // 000000020D24: D0CB0028 000281F1
	v_add_u32_e32 v241, 64, v241                               // 000000020D2C: 69E3E2C0
	s_nop 0                                                    // 000000020D30: BF800000
	v_cndmask_b32_e64 v125, v66, v125, s[40:41]                // 000000020D34: D100007D 00A2FB42
	v_cmp_le_u32_e64 s[40:41], v242, v64                       // 000000020D3C: D0CB0028 000281F2
	v_add_u32_e32 v242, 64, v242                               // 000000020D44: 69E5E4C0
	s_nop 0                                                    // 000000020D48: BF800000
	v_cndmask_b32_e64 v126, v66, v126, s[40:41]                // 000000020D4C: D100007E 00A2FD42
	v_cmp_le_u32_e64 s[40:41], v243, v64                       // 000000020D54: D0CB0028 000281F3
	v_add_u32_e32 v243, 64, v243                               // 000000020D5C: 69E7E6C0
	s_nop 0                                                    // 000000020D60: BF800000
	v_cndmask_b32_e64 v127, v66, v127, s[40:41]                // 000000020D64: D100007F 00A2FF42

0000000000020d6c <label_7ADB>:
	v_mov_b32_e32 v48, v112                                    // 000000020D6C: 7E600370
	v_max3_f32 v48, v112, v113, v48                            // 000000020D70: D1D30030 04C2E370
	v_max3_f32 v48, v114, v115, v48                            // 000000020D78: D1D30030 04C2E772
	v_max3_f32 v48, v116, v117, v48                            // 000000020D80: D1D30030 04C2EB74
	v_max3_f32 v48, v118, v119, v48                            // 000000020D88: D1D30030 04C2EF76
	v_max3_f32 v48, v120, v121, v48                            // 000000020D90: D1D30030 04C2F378
	v_max3_f32 v48, v122, v123, v48                            // 000000020D98: D1D30030 04C2F77A
	v_max3_f32 v48, v124, v125, v48                            // 000000020DA0: D1D30030 04C2FB7C
	v_max3_f32 v48, v126, v127, v48                            // 000000020DA8: D1D30030 04C2FF7E
	ds_write_b32 v8, v48 offset:16896                          // 000000020DB0: D81A4200 00003008
	buffer_load_dwordx4 a[24:27], v25, s[16:19], 0 offen       // 000000020DB8: E05C1000 80841819
	v_mul_u32_u24_dpp v64, v16, v54 row_newbcast:1 row_mask:0xf bank_mask:0xf// 000000020DC0: 10806CFA FF015110
	v_mul_u32_u24_dpp v65, v16, v54 row_newbcast:5 row_mask:0xf bank_mask:0xf// 000000020DC8: 10826CFA FF015510
	v_mul_u32_u24_dpp v66, v16, v54 row_newbcast:9 row_mask:0xf bank_mask:0xf// 000000020DD0: 10846CFA FF015910
	v_mul_u32_u24_dpp v67, v16, v54 row_newbcast:13 row_mask:0xf bank_mask:0xf// 000000020DD8: 10866CFA FF015D10
	v_add_u32_e32 v30, v64, v6                                 // 000000020DE0: 683C0D40
	v_add_u32_e32 v31, v65, v6                                 // 000000020DE4: 683E0D41
	v_add_u32_e32 v32, v66, v6                                 // 000000020DE8: 68400D42
	v_add_u32_e32 v33, v67, v6                                 // 000000020DEC: 68420D43
	v_mul_f32_e32 v208, v49, v208                              // 000000020DF0: 0BA1A131
	v_mul_f32_e32 v209, v49, v209                              // 000000020DF4: 0BA3A331
	v_mul_f32_e32 v210, v49, v210                              // 000000020DF8: 0BA5A531
	v_mul_f32_e32 v211, v49, v211                              // 000000020DFC: 0BA7A731
	v_mul_f32_e32 v212, v49, v212                              // 000000020E00: 0BA9A931
	v_mul_f32_e32 v213, v49, v213                              // 000000020E04: 0BABAB31
	v_mul_f32_e32 v214, v49, v214                              // 000000020E08: 0BADAD31
	v_mul_f32_e32 v215, v49, v215                              // 000000020E0C: 0BAFAF31
	s_waitcnt lgkmcnt(0)                                       // 000000020E10: BF8CC07F
	s_barrier                                                  // 000000020E14: BF8A0000
	ds_read_b32 v64, v7 offset:16896                           // 000000020E18: D86C4200 40000007
	ds_read_b32 v65, v7 offset:16960                           // 000000020E20: D86C4240 41000007
	ds_read_b32 v66, v7 offset:17024                           // 000000020E28: D86C4280 42000007
	ds_read_b32 v67, v7 offset:17088                           // 000000020E30: D86C42C0 43000007
	ds_read_b32 v68, v7 offset:17152                           // 000000020E38: D86C4300 44000007
	ds_read_b32 v69, v7 offset:17216                           // 000000020E40: D86C4340 45000007
	ds_read_b32 v70, v7 offset:17280                           // 000000020E48: D86C4380 46000007
	ds_read_b32 v71, v7 offset:17344                           // 000000020E50: D86C43C0 47000007
	ds_read_b32 v72, v7 offset:17408                           // 000000020E58: D86C4400 48000007
	ds_read_b32 v73, v7 offset:17472                           // 000000020E60: D86C4440 49000007
	ds_read_b32 v74, v7 offset:17536                           // 000000020E68: D86C4480 4A000007
	ds_read_b32 v75, v7 offset:17600                           // 000000020E70: D86C44C0 4B000007
	ds_read_b32 v76, v7 offset:17664                           // 000000020E78: D86C4500 4C000007
	ds_read_b32 v77, v7 offset:17728                           // 000000020E80: D86C4540 4D000007
	ds_read_b32 v78, v7 offset:17792                           // 000000020E88: D86C4580 4E000007
	ds_read_b32 v79, v7 offset:17856                           // 000000020E90: D86C45C0 4F000007
	buffer_load_dwordx4 a[28:31], v25, s[16:19], 0 offen offset:1024// 000000020E98: E05C1400 80841C19
	v_mul_f32_e32 v176, v44, v176                              // 000000020EA0: 0B61612C
	v_mul_f32_e32 v177, v44, v177                              // 000000020EA4: 0B63632C
	v_mul_f32_e32 v178, v44, v178                              // 000000020EA8: 0B65652C
	v_mul_f32_e32 v179, v44, v179                              // 000000020EAC: 0B67672C
	v_mul_f32_e32 v180, v44, v180                              // 000000020EB0: 0B69692C
	v_mul_f32_e32 v181, v44, v181                              // 000000020EB4: 0B6B6B2C
	v_mul_f32_e32 v182, v44, v182                              // 000000020EB8: 0B6D6D2C
	v_mul_f32_e32 v183, v44, v183                              // 000000020EBC: 0B6F6F2C
	s_waitcnt lgkmcnt(0)                                       // 000000020EC0: BF8CC07F
	v_max3_f32 v48, v64, v65, v48                              // 000000020EC4: D1D30030 04C28340
	v_max3_f32 v48, v66, v67, v48                              // 000000020ECC: D1D30030 04C28742
	v_max3_f32 v48, v68, v69, v48                              // 000000020ED4: D1D30030 04C28B44
	v_max3_f32 v48, v70, v71, v48                              // 000000020EDC: D1D30030 04C28F46
	v_max3_f32 v48, v72, v73, v48                              // 000000020EE4: D1D30030 04C29348
	v_max3_f32 v48, v74, v75, v48                              // 000000020EEC: D1D30030 04C2974A
	v_max3_f32 v48, v76, v77, v48                              // 000000020EF4: D1D30030 04C29B4C
	v_max3_f32 v48, v78, v79, v48                              // 000000020EFC: D1D30030 04C29F4E
	buffer_load_dwordx4 a[64:67], v30, s[20:23], 0 offen       // 000000020F04: E05C1000 8085401E
	v_mov_b32_e32 v64, 0xff800000                              // 000000020F0C: 7E8002FF FF800000
	v_cmp_eq_u32_e64 s[40:41], v64, v11                        // 000000020F14: D0CA0028 00021740
	s_nop 1                                                    // 000000020F1C: BF800001
	v_max_f32_e32 v15, v48, v11                                // 000000020F20: 161E1730
	v_mul_f32_e32 v53, s64, v15                                // 000000020F24: 0A6A1E40
	v_fma_f32 v112, v112, s64, -v53                            // 000000020F28: D1CB0070 84D48170
	v_fma_f32 v113, v113, s64, -v53                            // 000000020F30: D1CB0071 84D48171
	v_fma_f32 v114, v114, s64, -v53                            // 000000020F38: D1CB0072 84D48172
	v_fma_f32 v115, v115, s64, -v53                            // 000000020F40: D1CB0073 84D48173
	v_fma_f32 v116, v116, s64, -v53                            // 000000020F48: D1CB0074 84D48174
	v_fma_f32 v117, v117, s64, -v53                            // 000000020F50: D1CB0075 84D48175
	v_fma_f32 v118, v118, s64, -v53                            // 000000020F58: D1CB0076 84D48176
	v_fma_f32 v119, v119, s64, -v53                            // 000000020F60: D1CB0077 84D48177
	v_fma_f32 v120, v120, s64, -v53                            // 000000020F68: D1CB0078 84D48178
	v_fma_f32 v121, v121, s64, -v53                            // 000000020F70: D1CB0079 84D48179
	v_fma_f32 v122, v122, s64, -v53                            // 000000020F78: D1CB007A 84D4817A
	v_fma_f32 v123, v123, s64, -v53                            // 000000020F80: D1CB007B 84D4817B
	v_fma_f32 v124, v124, s64, -v53                            // 000000020F88: D1CB007C 84D4817C
	v_fma_f32 v125, v125, s64, -v53                            // 000000020F90: D1CB007D 84D4817D
	v_fma_f32 v126, v126, s64, -v53                            // 000000020F98: D1CB007E 84D4817E
	v_fma_f32 v127, v127, s64, -v53                            // 000000020FA0: D1CB007F 84D4817F
	buffer_load_dwordx4 a[68:71], v31, s[20:23], 0 offen       // 000000020FA8: E05C1000 8085441F
	v_exp_f32_e32 v112, v112                                   // 000000020FB0: 7EE04170
	v_exp_f32_e32 v113, v113                                   // 000000020FB4: 7EE24171
	v_exp_f32_e32 v114, v114                                   // 000000020FB8: 7EE44172
	v_exp_f32_e32 v115, v115                                   // 000000020FBC: 7EE64173
	v_exp_f32_e32 v116, v116                                   // 000000020FC0: 7EE84174
	v_exp_f32_e32 v117, v117                                   // 000000020FC4: 7EEA4175
	v_exp_f32_e32 v118, v118                                   // 000000020FC8: 7EEC4176
	v_exp_f32_e32 v119, v119                                   // 000000020FCC: 7EEE4177
	v_exp_f32_e32 v120, v120                                   // 000000020FD0: 7EF04178
	v_exp_f32_e32 v121, v121                                   // 000000020FD4: 7EF24179
	v_exp_f32_e32 v122, v122                                   // 000000020FD8: 7EF4417A
	v_exp_f32_e32 v123, v123                                   // 000000020FDC: 7EF6417B
	v_exp_f32_e32 v124, v124                                   // 000000020FE0: 7EF8417C
	v_exp_f32_e32 v125, v125                                   // 000000020FE4: 7EFA417D
	v_exp_f32_e32 v126, v126                                   // 000000020FE8: 7EFC417E
	v_exp_f32_e32 v127, v127                                   // 000000020FEC: 7EFE417F
	buffer_load_dwordx4 a[72:75], v32, s[20:23], 0 offen       // 000000020FF0: E05C1000 80854820
	v_mul_f32_dpp v240, v252, v112 quad_perm:[0,0,0,0] row_mask:0xf bank_mask:0xf// 000000020FF8: 0BE0E0FA FF0000FC
	v_mul_f32_dpp v241, v252, v113 quad_perm:[1,1,1,1] row_mask:0xf bank_mask:0xf// 000000021000: 0BE2E2FA FF0055FC
	v_mul_f32_dpp v242, v252, v114 quad_perm:[2,2,2,2] row_mask:0xf bank_mask:0xf// 000000021008: 0BE4E4FA FF00AAFC
	v_mul_f32_dpp v243, v252, v115 quad_perm:[3,3,3,3] row_mask:0xf bank_mask:0xf// 000000021010: 0BE6E6FA FF00FFFC
	v_mul_f32_dpp v244, v253, v116 quad_perm:[0,0,0,0] row_mask:0xf bank_mask:0xf// 000000021018: 0BE8E8FA FF0000FD
	v_mul_f32_dpp v245, v253, v117 quad_perm:[1,1,1,1] row_mask:0xf bank_mask:0xf// 000000021020: 0BEAEAFA FF0055FD
	v_mul_f32_dpp v246, v253, v118 quad_perm:[2,2,2,2] row_mask:0xf bank_mask:0xf// 000000021028: 0BECECFA FF00AAFD
	v_mul_f32_dpp v247, v253, v119 quad_perm:[3,3,3,3] row_mask:0xf bank_mask:0xf// 000000021030: 0BEEEEFA FF00FFFD
	v_mul_f32_dpp v248, v254, v120 quad_perm:[0,0,0,0] row_mask:0xf bank_mask:0xf// 000000021038: 0BF0F0FA FF0000FE
	v_mul_f32_dpp v249, v254, v121 quad_perm:[1,1,1,1] row_mask:0xf bank_mask:0xf// 000000021040: 0BF2F2FA FF0055FE
	v_mul_f32_dpp v250, v254, v122 quad_perm:[2,2,2,2] row_mask:0xf bank_mask:0xf// 000000021048: 0BF4F4FA FF00AAFE
	v_mul_f32_dpp v251, v254, v123 quad_perm:[3,3,3,3] row_mask:0xf bank_mask:0xf// 000000021050: 0BF6F6FA FF00FFFE
	v_mul_f32_dpp v252, v255, v124 quad_perm:[0,0,0,0] row_mask:0xf bank_mask:0xf// 000000021058: 0BF8F8FA FF0000FF
	v_mul_f32_dpp v253, v255, v125 quad_perm:[1,1,1,1] row_mask:0xf bank_mask:0xf// 000000021060: 0BFAFAFA FF0055FF
	v_mul_f32_dpp v254, v255, v126 quad_perm:[2,2,2,2] row_mask:0xf bank_mask:0xf// 000000021068: 0BFCFCFA FF00AAFF
	v_mul_f32_dpp v255, v255, v127 quad_perm:[3,3,3,3] row_mask:0xf bank_mask:0xf// 000000021070: 0BFEFEFA FF00FFFF
	v_mov_b32_e32 v48, 0x358637bd                              // 000000021078: 7E6002FF 358637BD
	v_max3_f32 v48, |v240|, |v241|, v48                        // 000000021080: D1D30330 04C3E3F0
	v_max3_f32 v48, |v242|, |v243|, v48                        // 000000021088: D1D30330 04C3E7F2
	v_max3_f32 v48, |v244|, |v245|, v48                        // 000000021090: D1D30330 04C3EBF4
	v_max3_f32 v48, |v246|, |v247|, v48                        // 000000021098: D1D30330 04C3EFF6
	v_max3_f32 v48, |v248|, |v249|, v48                        // 0000000210A0: D1D30330 04C3F3F8
	v_max3_f32 v48, |v250|, |v251|, v48                        // 0000000210A8: D1D30330 04C3F7FA
	v_max3_f32 v48, |v252|, |v253|, v48                        // 0000000210B0: D1D30330 04C3FBFC
	v_max3_f32 v48, |v254|, |v255|, v48                        // 0000000210B8: D1D30330 04C3FFFE
	buffer_load_dwordx4 a[76:79], v33, s[20:23], 0 offen       // 0000000210C0: E05C1000 80854C21
	ds_write_b32 v8, v48 offset:20992                          // 0000000210C8: D81A5200 00003008
	v_sub_f32_e32 v49, v11, v15                                // 0000000210D0: 04621F0B
	v_cndmask_b32_e64 v49, v49, 0, s[40:41]                    // 0000000210D4: D1000031 00A10131
	v_mov_b32_e32 v11, v15                                     // 0000000210DC: 7E16030F
	v_mul_f32_e32 v49, s64, v49                                // 0000000210E0: 0A626240
	v_exp_f32_e32 v49, v49                                     // 0000000210E4: 7E624131
	s_waitcnt lgkmcnt(0)                                       // 0000000210E8: BF8CC07F
	s_barrier                                                  // 0000000210EC: BF8A0000
	ds_read_b32 v64, v7 offset:20992                           // 0000000210F0: D86C5200 40000007
	ds_read_b32 v65, v7 offset:21056                           // 0000000210F8: D86C5240 41000007
	ds_read_b32 v66, v7 offset:21120                           // 000000021100: D86C5280 42000007
	ds_read_b32 v67, v7 offset:21184                           // 000000021108: D86C52C0 43000007
	ds_read_b32 v68, v7 offset:21248                           // 000000021110: D86C5300 44000007
	ds_read_b32 v69, v7 offset:21312                           // 000000021118: D86C5340 45000007
	ds_read_b32 v70, v7 offset:21376                           // 000000021120: D86C5380 46000007
	ds_read_b32 v71, v7 offset:21440                           // 000000021128: D86C53C0 47000007
	ds_read_b32 v72, v7 offset:21504                           // 000000021130: D86C5400 48000007
	ds_read_b32 v73, v7 offset:21568                           // 000000021138: D86C5440 49000007
	ds_read_b32 v74, v7 offset:21632                           // 000000021140: D86C5480 4A000007
	ds_read_b32 v75, v7 offset:21696                           // 000000021148: D86C54C0 4B000007
	ds_read_b32 v76, v7 offset:21760                           // 000000021150: D86C5500 4C000007
	ds_read_b32 v77, v7 offset:21824                           // 000000021158: D86C5540 4D000007
	ds_read_b32 v78, v7 offset:21888                           // 000000021160: D86C5580 4E000007
	ds_read_b32 v79, v7 offset:21952                           // 000000021168: D86C55C0 4F000007
	v_mul_f32_e32 v38, v49, v38                                // 000000021170: 0A4C4D31
	v_mov_b32_e32 v15, v112                                    // 000000021174: 7E1E0370
	v_add_f32_e32 v15, v113, v15                               // 000000021178: 021E1F71
	v_add_f32_e32 v15, v114, v15                               // 00000002117C: 021E1F72
	v_add_f32_e32 v15, v115, v15                               // 000000021180: 021E1F73
	v_add_f32_e32 v15, v116, v15                               // 000000021184: 021E1F74
	v_add_f32_e32 v15, v117, v15                               // 000000021188: 021E1F75
	v_add_f32_e32 v15, v118, v15                               // 00000002118C: 021E1F76
	v_add_f32_e32 v15, v119, v15                               // 000000021190: 021E1F77
	v_add_f32_e32 v15, v120, v15                               // 000000021194: 021E1F78
	v_add_f32_e32 v15, v121, v15                               // 000000021198: 021E1F79
	v_add_f32_e32 v15, v122, v15                               // 00000002119C: 021E1F7A
	v_add_f32_e32 v15, v123, v15                               // 0000000211A0: 021E1F7B
	v_add_f32_e32 v15, v124, v15                               // 0000000211A4: 021E1F7C
	v_add_f32_e32 v15, v125, v15                               // 0000000211A8: 021E1F7D
	v_add_f32_e32 v15, v126, v15                               // 0000000211AC: 021E1F7E
	v_add_f32_e32 v15, v127, v15                               // 0000000211B0: 021E1F7F
	v_add_f32_e32 v38, v15, v38                                // 0000000211B4: 024C4D0F
	s_waitcnt lgkmcnt(0)                                       // 0000000211B8: BF8CC07F
	v_max3_f32 v48, |v64|, |v65|, v48                          // 0000000211BC: D1D30330 04C28340
	v_max3_f32 v48, |v66|, |v67|, v48                          // 0000000211C4: D1D30330 04C28742
	v_max3_f32 v48, |v68|, |v69|, v48                          // 0000000211CC: D1D30330 04C28B44
	v_max3_f32 v48, |v70|, |v71|, v48                          // 0000000211D4: D1D30330 04C28F46
	v_max3_f32 v48, |v72|, |v73|, v48                          // 0000000211DC: D1D30330 04C29348
	v_max3_f32 v48, |v74|, |v75|, v48                          // 0000000211E4: D1D30330 04C2974A
	v_max3_f32 v48, |v76|, |v77|, v48                          // 0000000211EC: D1D30330 04C29B4C
	v_max3_f32 v48, |v78|, |v79|, v48                          // 0000000211F4: D1D30330 04C29F4E
	s_nop 2                                                    // 0000000211FC: BF800002
	v_rcp_f32_e32 v48, v48                                     // 000000021200: 7E604530
	s_nop 1                                                    // 000000021204: BF800001
	v_mul_f32_e32 v48, 0x43e00000, v48                         // 000000021208: 0A6060FF 43E00000
	v_mul_f32_e32 v112, v48, v240                              // 000000021210: 0AE1E130
	v_mul_f32_e32 v113, v48, v241                              // 000000021214: 0AE3E330
	v_mul_f32_e32 v114, v48, v242                              // 000000021218: 0AE5E530
	v_mul_f32_e32 v115, v48, v243                              // 00000002121C: 0AE7E730
	v_mul_f32_e32 v116, v48, v244                              // 000000021220: 0AE9E930
	v_mul_f32_e32 v117, v48, v245                              // 000000021224: 0AEBEB30
	v_mul_f32_e32 v118, v48, v246                              // 000000021228: 0AEDED30
	v_mul_f32_e32 v119, v48, v247                              // 00000002122C: 0AEFEF30
	v_mul_f32_e32 v120, v48, v248                              // 000000021230: 0AF1F130
	v_mul_f32_e32 v121, v48, v249                              // 000000021234: 0AF3F330
	v_mul_f32_e32 v122, v48, v250                              // 000000021238: 0AF5F530
	v_mul_f32_e32 v123, v48, v251                              // 00000002123C: 0AF7F730
	v_mul_f32_e32 v124, v48, v252                              // 000000021240: 0AF9F930
	v_mul_f32_e32 v125, v48, v253                              // 000000021244: 0AFBFB30
	v_mul_f32_e32 v126, v48, v254                              // 000000021248: 0AFDFD30
	v_mul_f32_e32 v127, v48, v255                              // 00000002124C: 0AFFFF30
	v_cvt_pk_fp8_f32 v112, v112, v113                          // 000000021250: D2A20070 0002E370
	v_cvt_pk_fp8_f32 v112, v114, v115 op_sel:[0,0,1]           // 000000021258: D2A24070 0002E772
	v_cvt_pk_fp8_f32 v113, v116, v117                          // 000000021260: D2A20071 0002EB74
	v_cvt_pk_fp8_f32 v113, v118, v119 op_sel:[0,0,1]           // 000000021268: D2A24071 0002EF76
	v_cvt_pk_fp8_f32 v114, v120, v121                          // 000000021270: D2A20072 0002F378
	v_cvt_pk_fp8_f32 v114, v122, v123 op_sel:[0,0,1]           // 000000021278: D2A24072 0002F77A
	v_cvt_pk_fp8_f32 v115, v124, v125                          // 000000021280: D2A20073 0002FB7C
	v_cvt_pk_fp8_f32 v115, v126, v127 op_sel:[0,0,1]           // 000000021288: D2A24073 0002FF7E
	ds_write_b32 v10, v112 offset:25088                        // 000000021290: D81A6200 0000700A
	ds_write_b32 v10, v113 offset:26112                        // 000000021298: D81A6600 0000710A
	ds_write_b32 v10, v114 offset:27136                        // 0000000212A0: D81A6A00 0000720A
	ds_write_b32 v10, v115 offset:28160                        // 0000000212A8: D81A6E00 0000730A
	v_add_f32_e32 v208, v208, v176                             // 0000000212B0: 03A161D0
	v_add_f32_e32 v209, v209, v177                             // 0000000212B4: 03A363D1
	v_add_f32_e32 v210, v210, v178                             // 0000000212B8: 03A565D2
	v_add_f32_e32 v211, v211, v179                             // 0000000212BC: 03A767D3
	v_add_f32_e32 v212, v212, v180                             // 0000000212C0: 03A969D4
	v_add_f32_e32 v213, v213, v181                             // 0000000212C4: 03AB6BD5
	v_add_f32_e32 v214, v214, v182                             // 0000000212C8: 03AD6DD6
	v_add_f32_e32 v215, v215, v183                             // 0000000212CC: 03AF6FD7
	v_rcp_f32_e32 v44, v48                                     // 0000000212D0: 7E584530
	s_waitcnt lgkmcnt(0)                                       // 0000000212D4: BF8CC07F
	s_barrier                                                  // 0000000212D8: BF8A0000
	ds_read_b64 v[112:113], v9 offset:25088                    // 0000000212DC: D8EC6200 70000009
	ds_read_b64 v[114:115], v9 offset:25216                    // 0000000212E4: D8EC6280 72000009
	ds_read_b64 v[116:117], v9 offset:26112                    // 0000000212EC: D8EC6600 74000009
	ds_read_b64 v[118:119], v9 offset:26240                    // 0000000212F4: D8EC6680 76000009
	ds_read_b64 v[120:121], v9 offset:27136                    // 0000000212FC: D8EC6A00 78000009
	ds_read_b64 v[122:123], v9 offset:27264                    // 000000021304: D8EC6A80 7A000009
	ds_read_b64 v[124:125], v9 offset:28160                    // 00000002130C: D8EC6E00 7C000009
	ds_read_b64 v[126:127], v9 offset:28288                    // 000000021314: D8EC6E80 7E000009
	v_mov_b32_dpp v64, v43 row_shr:4 row_mask:0xf bank_mask:0xf// 00000002131C: 7E8002FA FF01142B
	v_mov_b32_dpp v65, v43 row_shl:4 row_mask:0xf bank_mask:0xf// 000000021324: 7E8202FA FF01042B
	v_cndmask_b32_e64 v248, v43, v64, s[44:45]                 // 00000002132C: D10000F8 00B2812B
	v_cndmask_b32_e64 v249, v65, v43, s[44:45]                 // 000000021334: D10000F9 00B25741
	v_mov_b32_dpp v64, v248 row_shr:8 row_mask:0xf bank_mask:0xf// 00000002133C: 7E8002FA FF0118F8
	v_mov_b32_dpp v65, v248 row_shl:8 row_mask:0xf bank_mask:0xf// 000000021344: 7E8202FA FF0108F8
	v_mov_b32_dpp v66, v249 row_shr:8 row_mask:0xf bank_mask:0xf// 00000002134C: 7E8402FA FF0118F9
	v_mov_b32_dpp v67, v249 row_shl:8 row_mask:0xf bank_mask:0xf// 000000021354: 7E8602FA FF0108F9
	v_mov_b32_e32 v68, v248                                    // 00000002135C: 7E8803F8
	v_mov_b32_e32 v69, v249                                    // 000000021360: 7E8A03F9
	v_cndmask_b32_e64 v248, v68, v64, s[42:43]                 // 000000021364: D10000F8 00AA8144
	v_cndmask_b32_e64 v250, v68, v65, s[78:79]                 // 00000002136C: D10000FA 013A8344
	v_cndmask_b32_e64 v249, v69, v66, s[42:43]                 // 000000021374: D10000F9 00AA8545
	v_cndmask_b32_e64 v251, v69, v67, s[78:79]                 // 00000002137C: D10000FB 013A8745
	v_mov_b32_dpp v64, v58 row_shr:4 row_mask:0xf bank_mask:0xf// 000000021384: 7E8002FA FF01143A
	v_mov_b32_dpp v65, v58 row_shl:4 row_mask:0xf bank_mask:0xf// 00000002138C: 7E8202FA FF01043A
	v_cndmask_b32_e64 v252, v58, v64, s[44:45]                 // 000000021394: D10000FC 00B2813A
	v_cndmask_b32_e64 v253, v65, v58, s[44:45]                 // 00000002139C: D10000FD 00B27541
	v_mov_b32_dpp v64, v252 row_shr:8 row_mask:0xf bank_mask:0xf// 0000000213A4: 7E8002FA FF0118FC
	v_mov_b32_dpp v65, v252 row_shl:8 row_mask:0xf bank_mask:0xf// 0000000213AC: 7E8202FA FF0108FC
	v_mov_b32_dpp v66, v253 row_shr:8 row_mask:0xf bank_mask:0xf// 0000000213B4: 7E8402FA FF0118FD
	v_mov_b32_dpp v67, v253 row_shl:8 row_mask:0xf bank_mask:0xf// 0000000213BC: 7E8602FA FF0108FD
	v_mov_b32_e32 v68, v252                                    // 0000000213C4: 7E8803FC
	v_mov_b32_e32 v69, v253                                    // 0000000213C8: 7E8A03FD
	v_cndmask_b32_e64 v252, v68, v64, s[42:43]                 // 0000000213CC: D10000FC 00AA8144
	v_cndmask_b32_e64 v254, v68, v65, s[78:79]                 // 0000000213D4: D10000FE 013A8344
	v_cndmask_b32_e64 v253, v69, v66, s[42:43]                 // 0000000213DC: D10000FD 00AA8545
	v_cndmask_b32_e64 v255, v69, v67, s[78:79]                 // 0000000213E4: D10000FF 013A8745
	v_mul_f32_e32 v128, v19, v128                              // 0000000213EC: 0B010113
	v_mul_f32_e32 v129, v19, v129                              // 0000000213F0: 0B030313
	v_mul_f32_e32 v130, v19, v130                              // 0000000213F4: 0B050513
	v_mul_f32_e32 v131, v19, v131                              // 0000000213F8: 0B070713
	v_mul_f32_e32 v132, v19, v132                              // 0000000213FC: 0B090913
	v_mul_f32_e32 v133, v19, v133                              // 000000021400: 0B0B0B13
	v_mul_f32_e32 v134, v19, v134                              // 000000021404: 0B0D0D13
	v_mul_f32_e32 v135, v19, v135                              // 000000021408: 0B0F0F13
	v_mul_f32_e32 v136, v19, v136                              // 00000002140C: 0B111113
	v_mul_f32_e32 v137, v19, v137                              // 000000021410: 0B131313
	v_mul_f32_e32 v138, v19, v138                              // 000000021414: 0B151513
	v_mul_f32_e32 v139, v19, v139                              // 000000021418: 0B171713
	v_mul_f32_e32 v140, v19, v140                              // 00000002141C: 0B191913
	v_mul_f32_e32 v141, v19, v141                              // 000000021420: 0B1B1B13
	v_mul_f32_e32 v142, v19, v142                              // 000000021424: 0B1D1D13
	v_mul_f32_e32 v143, v19, v143                              // 000000021428: 0B1F1F13
	v_mul_f32_dpp v128, v248, v128 quad_perm:[0,0,0,0] row_mask:0xf bank_mask:0xf// 00000002142C: 0B0100FA FF0000F8
	v_mul_f32_dpp v129, v248, v129 quad_perm:[1,1,1,1] row_mask:0xf bank_mask:0xf// 000000021434: 0B0302FA FF0055F8
	v_mul_f32_dpp v130, v248, v130 quad_perm:[2,2,2,2] row_mask:0xf bank_mask:0xf// 00000002143C: 0B0504FA FF00AAF8
	v_mul_f32_dpp v131, v248, v131 quad_perm:[3,3,3,3] row_mask:0xf bank_mask:0xf// 000000021444: 0B0706FA FF00FFF8
	v_mul_f32_dpp v132, v249, v132 quad_perm:[0,0,0,0] row_mask:0xf bank_mask:0xf// 00000002144C: 0B0908FA FF0000F9
	v_mul_f32_dpp v133, v249, v133 quad_perm:[1,1,1,1] row_mask:0xf bank_mask:0xf// 000000021454: 0B0B0AFA FF0055F9
	v_mul_f32_dpp v134, v249, v134 quad_perm:[2,2,2,2] row_mask:0xf bank_mask:0xf// 00000002145C: 0B0D0CFA FF00AAF9
	v_mul_f32_dpp v135, v249, v135 quad_perm:[3,3,3,3] row_mask:0xf bank_mask:0xf// 000000021464: 0B0F0EFA FF00FFF9
	v_mul_f32_dpp v136, v250, v136 quad_perm:[0,0,0,0] row_mask:0xf bank_mask:0xf// 00000002146C: 0B1110FA FF0000FA
	v_mul_f32_dpp v137, v250, v137 quad_perm:[1,1,1,1] row_mask:0xf bank_mask:0xf// 000000021474: 0B1312FA FF0055FA
	v_mul_f32_dpp v138, v250, v138 quad_perm:[2,2,2,2] row_mask:0xf bank_mask:0xf// 00000002147C: 0B1514FA FF00AAFA
	v_mul_f32_dpp v139, v250, v139 quad_perm:[3,3,3,3] row_mask:0xf bank_mask:0xf// 000000021484: 0B1716FA FF00FFFA
	v_mul_f32_dpp v140, v251, v140 quad_perm:[0,0,0,0] row_mask:0xf bank_mask:0xf// 00000002148C: 0B1918FA FF0000FB
	v_mul_f32_dpp v141, v251, v141 quad_perm:[1,1,1,1] row_mask:0xf bank_mask:0xf// 000000021494: 0B1B1AFA FF0055FB
	v_mul_f32_dpp v142, v251, v142 quad_perm:[2,2,2,2] row_mask:0xf bank_mask:0xf// 00000002149C: 0B1D1CFA FF00AAFB
	v_mul_f32_dpp v143, v251, v143 quad_perm:[3,3,3,3] row_mask:0xf bank_mask:0xf// 0000000214A4: 0B1F1EFA FF00FFFB
	s_cmp_le_i32 s90, s89                                      // 0000000214AC: BF05595A
	s_cbranch_scc1 label_7D1E                                  // 0000000214B0: BF850071
	v_mov_b32_e32 v66, 0xff800000                              // 0000000214B4: 7E8402FF FF800000
	s_mov_b32 s60, s90                                         // 0000000214BC: BEBC005A
	s_add_u32 s61, s89, 0xff                                   // 0000000214C0: 803DFF59 000000FF
	v_mov_b32_e32 v64, s61                                     // 0000000214C8: 7E80023D
	v_lshrrev_b32_e32 v240, 4, v0                              // 0000000214CC: 21E00084
	v_mul_i32_i24_e32 v240, 4, v240                            // 0000000214D0: 0DE1E084
	v_add_u32_e32 v240, s60, v240                              // 0000000214D4: 69E1E03C
	s_mov_b32 s61, 1                                           // 0000000214D8: BEBD0081
	s_mul_i32 s60, 16, s7                                      // 0000000214DC: 923C0790
	v_sub_u32_e64 v240, v240, s61                              // 0000000214E0: D13500F0 00007BF0
	v_add_u32_e32 v240, s60, v240                              // 0000000214E8: 69E1E03C
	v_add_u32_e32 v241, 1, v240                                // 0000000214EC: 69E3E081
	v_add_u32_e32 v242, 2, v240                                // 0000000214F0: 69E5E082
	v_add_u32_e32 v243, 3, v240                                // 0000000214F4: 69E7E083
	v_cmp_le_u32_e64 s[40:41], v240, v64                       // 0000000214F8: D0CB0028 000281F0
	v_add_u32_e32 v240, 64, v240                               // 000000021500: 69E1E0C0
	s_nop 0                                                    // 000000021504: BF800000
	v_cndmask_b32_e64 v128, v66, v128, s[40:41]                // 000000021508: D1000080 00A30142
	v_cmp_le_u32_e64 s[40:41], v241, v64                       // 000000021510: D0CB0028 000281F1
	v_add_u32_e32 v241, 64, v241                               // 000000021518: 69E3E2C0
	s_nop 0                                                    // 00000002151C: BF800000
	v_cndmask_b32_e64 v129, v66, v129, s[40:41]                // 000000021520: D1000081 00A30342
	v_cmp_le_u32_e64 s[40:41], v242, v64                       // 000000021528: D0CB0028 000281F2
	v_add_u32_e32 v242, 64, v242                               // 000000021530: 69E5E4C0
	s_nop 0                                                    // 000000021534: BF800000
	v_cndmask_b32_e64 v130, v66, v130, s[40:41]                // 000000021538: D1000082 00A30542
	v_cmp_le_u32_e64 s[40:41], v243, v64                       // 000000021540: D0CB0028 000281F3
	v_add_u32_e32 v243, 64, v243                               // 000000021548: 69E7E6C0
	s_nop 0                                                    // 00000002154C: BF800000
	v_cndmask_b32_e64 v131, v66, v131, s[40:41]                // 000000021550: D1000083 00A30742
	v_cmp_le_u32_e64 s[40:41], v240, v64                       // 000000021558: D0CB0028 000281F0
	v_add_u32_e32 v240, 64, v240                               // 000000021560: 69E1E0C0
	s_nop 0                                                    // 000000021564: BF800000
	v_cndmask_b32_e64 v132, v66, v132, s[40:41]                // 000000021568: D1000084 00A30942
	v_cmp_le_u32_e64 s[40:41], v241, v64                       // 000000021570: D0CB0028 000281F1
	v_add_u32_e32 v241, 64, v241                               // 000000021578: 69E3E2C0
	s_nop 0                                                    // 00000002157C: BF800000
	v_cndmask_b32_e64 v133, v66, v133, s[40:41]                // 000000021580: D1000085 00A30B42
	v_cmp_le_u32_e64 s[40:41], v242, v64                       // 000000021588: D0CB0028 000281F2
	v_add_u32_e32 v242, 64, v242                               // 000000021590: 69E5E4C0
	s_nop 0                                                    // 000000021594: BF800000
	v_cndmask_b32_e64 v134, v66, v134, s[40:41]                // 000000021598: D1000086 00A30D42
	v_cmp_le_u32_e64 s[40:41], v243, v64                       // 0000000215A0: D0CB0028 000281F3
	v_add_u32_e32 v243, 64, v243                               // 0000000215A8: 69E7E6C0
	s_nop 0                                                    // 0000000215AC: BF800000
	v_cndmask_b32_e64 v135, v66, v135, s[40:41]                // 0000000215B0: D1000087 00A30F42
	v_cmp_le_u32_e64 s[40:41], v240, v64                       // 0000000215B8: D0CB0028 000281F0
	v_add_u32_e32 v240, 64, v240                               // 0000000215C0: 69E1E0C0
	s_nop 0                                                    // 0000000215C4: BF800000
	v_cndmask_b32_e64 v136, v66, v136, s[40:41]                // 0000000215C8: D1000088 00A31142
	v_cmp_le_u32_e64 s[40:41], v241, v64                       // 0000000215D0: D0CB0028 000281F1
	v_add_u32_e32 v241, 64, v241                               // 0000000215D8: 69E3E2C0
	s_nop 0                                                    // 0000000215DC: BF800000
	v_cndmask_b32_e64 v137, v66, v137, s[40:41]                // 0000000215E0: D1000089 00A31342
	v_cmp_le_u32_e64 s[40:41], v242, v64                       // 0000000215E8: D0CB0028 000281F2
	v_add_u32_e32 v242, 64, v242                               // 0000000215F0: 69E5E4C0
	s_nop 0                                                    // 0000000215F4: BF800000
	v_cndmask_b32_e64 v138, v66, v138, s[40:41]                // 0000000215F8: D100008A 00A31542
	v_cmp_le_u32_e64 s[40:41], v243, v64                       // 000000021600: D0CB0028 000281F3
	v_add_u32_e32 v243, 64, v243                               // 000000021608: 69E7E6C0
	s_nop 0                                                    // 00000002160C: BF800000
	v_cndmask_b32_e64 v139, v66, v139, s[40:41]                // 000000021610: D100008B 00A31742
	v_cmp_le_u32_e64 s[40:41], v240, v64                       // 000000021618: D0CB0028 000281F0
	v_add_u32_e32 v240, 64, v240                               // 000000021620: 69E1E0C0
	s_nop 0                                                    // 000000021624: BF800000
	v_cndmask_b32_e64 v140, v66, v140, s[40:41]                // 000000021628: D100008C 00A31942
	v_cmp_le_u32_e64 s[40:41], v241, v64                       // 000000021630: D0CB0028 000281F1
	v_add_u32_e32 v241, 64, v241                               // 000000021638: 69E3E2C0
	s_nop 0                                                    // 00000002163C: BF800000
	v_cndmask_b32_e64 v141, v66, v141, s[40:41]                // 000000021640: D100008D 00A31B42
	v_cmp_le_u32_e64 s[40:41], v242, v64                       // 000000021648: D0CB0028 000281F2
	v_add_u32_e32 v242, 64, v242                               // 000000021650: 69E5E4C0
	s_nop 0                                                    // 000000021654: BF800000
	v_cndmask_b32_e64 v142, v66, v142, s[40:41]                // 000000021658: D100008E 00A31D42
	v_cmp_le_u32_e64 s[40:41], v243, v64                       // 000000021660: D0CB0028 000281F3
	v_add_u32_e32 v243, 64, v243                               // 000000021668: 69E7E6C0
	s_nop 0                                                    // 00000002166C: BF800000
	v_cndmask_b32_e64 v143, v66, v143, s[40:41]                // 000000021670: D100008F 00A31F42

0000000000021678 <label_7D1E>:
	v_mov_b32_e32 v48, v128                                    // 000000021678: 7E600380
	v_max3_f32 v48, v128, v129, v48                            // 00000002167C: D1D30030 04C30380
	v_max3_f32 v48, v130, v131, v48                            // 000000021684: D1D30030 04C30782
	v_max3_f32 v48, v132, v133, v48                            // 00000002168C: D1D30030 04C30B84
	v_max3_f32 v48, v134, v135, v48                            // 000000021694: D1D30030 04C30F86
	v_max3_f32 v48, v136, v137, v48                            // 00000002169C: D1D30030 04C31388
	v_max3_f32 v48, v138, v139, v48                            // 0000000216A4: D1D30030 04C3178A
	v_max3_f32 v48, v140, v141, v48                            // 0000000216AC: D1D30030 04C31B8C
	v_max3_f32 v48, v142, v143, v48                            // 0000000216B4: D1D30030 04C31F8E
	ds_write_b32 v8, v48 offset:16896                          // 0000000216BC: D81A4200 00003008
	v_mul_f32_e32 v216, v50, v216                              // 0000000216C4: 0BB1B132
	v_mul_f32_e32 v217, v50, v217                              // 0000000216C8: 0BB3B332
	v_mul_f32_e32 v218, v50, v218                              // 0000000216CC: 0BB5B532
	v_mul_f32_e32 v219, v50, v219                              // 0000000216D0: 0BB7B732
	v_mul_f32_e32 v220, v50, v220                              // 0000000216D4: 0BB9B932
	v_mul_f32_e32 v221, v50, v221                              // 0000000216D8: 0BBBBB32
	v_mul_f32_e32 v222, v50, v222                              // 0000000216DC: 0BBDBD32
	v_mul_f32_e32 v223, v50, v223                              // 0000000216E0: 0BBFBF32
	s_waitcnt lgkmcnt(0)                                       // 0000000216E4: BF8CC07F
	s_barrier                                                  // 0000000216E8: BF8A0000
	ds_read_b32 v64, v7 offset:16896                           // 0000000216EC: D86C4200 40000007
	ds_read_b32 v65, v7 offset:16960                           // 0000000216F4: D86C4240 41000007
	ds_read_b32 v66, v7 offset:17024                           // 0000000216FC: D86C4280 42000007
	ds_read_b32 v67, v7 offset:17088                           // 000000021704: D86C42C0 43000007
	ds_read_b32 v68, v7 offset:17152                           // 00000002170C: D86C4300 44000007
	ds_read_b32 v69, v7 offset:17216                           // 000000021714: D86C4340 45000007
	ds_read_b32 v70, v7 offset:17280                           // 00000002171C: D86C4380 46000007
	ds_read_b32 v71, v7 offset:17344                           // 000000021724: D86C43C0 47000007
	ds_read_b32 v72, v7 offset:17408                           // 00000002172C: D86C4400 48000007
	ds_read_b32 v73, v7 offset:17472                           // 000000021734: D86C4440 49000007
	ds_read_b32 v74, v7 offset:17536                           // 00000002173C: D86C4480 4A000007
	ds_read_b32 v75, v7 offset:17600                           // 000000021744: D86C44C0 4B000007
	ds_read_b32 v76, v7 offset:17664                           // 00000002174C: D86C4500 4C000007
	ds_read_b32 v77, v7 offset:17728                           // 000000021754: D86C4540 4D000007
	ds_read_b32 v78, v7 offset:17792                           // 00000002175C: D86C4580 4E000007
	ds_read_b32 v79, v7 offset:17856                           // 000000021764: D86C45C0 4F000007
	v_mul_f32_e32 v184, v45, v184                              // 00000002176C: 0B71712D
	v_mul_f32_e32 v185, v45, v185                              // 000000021770: 0B73732D
	v_mul_f32_e32 v186, v45, v186                              // 000000021774: 0B75752D
	v_mul_f32_e32 v187, v45, v187                              // 000000021778: 0B77772D
	v_mul_f32_e32 v188, v45, v188                              // 00000002177C: 0B79792D
	v_mul_f32_e32 v189, v45, v189                              // 000000021780: 0B7B7B2D
	v_mul_f32_e32 v190, v45, v190                              // 000000021784: 0B7D7D2D
	v_mul_f32_e32 v191, v45, v191                              // 000000021788: 0B7F7F2D
	s_waitcnt lgkmcnt(0)                                       // 00000002178C: BF8CC07F
	v_max3_f32 v48, v64, v65, v48                              // 000000021790: D1D30030 04C28340
	v_max3_f32 v48, v66, v67, v48                              // 000000021798: D1D30030 04C28742
	v_max3_f32 v48, v68, v69, v48                              // 0000000217A0: D1D30030 04C28B44
	v_max3_f32 v48, v70, v71, v48                              // 0000000217A8: D1D30030 04C28F46
	v_max3_f32 v48, v72, v73, v48                              // 0000000217B0: D1D30030 04C29348
	v_max3_f32 v48, v74, v75, v48                              // 0000000217B8: D1D30030 04C2974A
	v_max3_f32 v48, v76, v77, v48                              // 0000000217C0: D1D30030 04C29B4C
	v_max3_f32 v48, v78, v79, v48                              // 0000000217C8: D1D30030 04C29F4E
	v_mov_b32_e32 v64, 0xff800000                              // 0000000217D0: 7E8002FF FF800000
	v_cmp_eq_u32_e64 s[40:41], v64, v12                        // 0000000217D8: D0CA0028 00021940
	s_nop 1                                                    // 0000000217E0: BF800001
	v_max_f32_e32 v15, v48, v12                                // 0000000217E4: 161E1930
	v_mul_f32_e32 v53, s64, v15                                // 0000000217E8: 0A6A1E40
	v_fma_f32 v128, v128, s64, -v53                            // 0000000217EC: D1CB0080 84D48180
	v_fma_f32 v129, v129, s64, -v53                            // 0000000217F4: D1CB0081 84D48181
	v_fma_f32 v130, v130, s64, -v53                            // 0000000217FC: D1CB0082 84D48182
	v_fma_f32 v131, v131, s64, -v53                            // 000000021804: D1CB0083 84D48183
	v_fma_f32 v132, v132, s64, -v53                            // 00000002180C: D1CB0084 84D48184
	v_fma_f32 v133, v133, s64, -v53                            // 000000021814: D1CB0085 84D48185
	v_fma_f32 v134, v134, s64, -v53                            // 00000002181C: D1CB0086 84D48186
	v_fma_f32 v135, v135, s64, -v53                            // 000000021824: D1CB0087 84D48187
	v_fma_f32 v136, v136, s64, -v53                            // 00000002182C: D1CB0088 84D48188
	v_fma_f32 v137, v137, s64, -v53                            // 000000021834: D1CB0089 84D48189
	v_fma_f32 v138, v138, s64, -v53                            // 00000002183C: D1CB008A 84D4818A
	v_fma_f32 v139, v139, s64, -v53                            // 000000021844: D1CB008B 84D4818B
	v_fma_f32 v140, v140, s64, -v53                            // 00000002184C: D1CB008C 84D4818C
	v_fma_f32 v141, v141, s64, -v53                            // 000000021854: D1CB008D 84D4818D
	v_fma_f32 v142, v142, s64, -v53                            // 00000002185C: D1CB008E 84D4818E
	v_fma_f32 v143, v143, s64, -v53                            // 000000021864: D1CB008F 84D4818F
	v_exp_f32_e32 v128, v128                                   // 00000002186C: 7F004180
	v_exp_f32_e32 v129, v129                                   // 000000021870: 7F024181
	v_exp_f32_e32 v130, v130                                   // 000000021874: 7F044182
	v_exp_f32_e32 v131, v131                                   // 000000021878: 7F064183
	v_exp_f32_e32 v132, v132                                   // 00000002187C: 7F084184
	v_exp_f32_e32 v133, v133                                   // 000000021880: 7F0A4185
	v_exp_f32_e32 v134, v134                                   // 000000021884: 7F0C4186
	v_exp_f32_e32 v135, v135                                   // 000000021888: 7F0E4187
	v_exp_f32_e32 v136, v136                                   // 00000002188C: 7F104188
	v_exp_f32_e32 v137, v137                                   // 000000021890: 7F124189
	v_exp_f32_e32 v138, v138                                   // 000000021894: 7F14418A
	v_exp_f32_e32 v139, v139                                   // 000000021898: 7F16418B
	v_exp_f32_e32 v140, v140                                   // 00000002189C: 7F18418C
	v_exp_f32_e32 v141, v141                                   // 0000000218A0: 7F1A418D
	v_exp_f32_e32 v142, v142                                   // 0000000218A4: 7F1C418E
	v_exp_f32_e32 v143, v143                                   // 0000000218A8: 7F1E418F
	v_mul_f32_dpp v240, v252, v128 quad_perm:[0,0,0,0] row_mask:0xf bank_mask:0xf// 0000000218AC: 0BE100FA FF0000FC
	v_mul_f32_dpp v241, v252, v129 quad_perm:[1,1,1,1] row_mask:0xf bank_mask:0xf// 0000000218B4: 0BE302FA FF0055FC
	v_mul_f32_dpp v242, v252, v130 quad_perm:[2,2,2,2] row_mask:0xf bank_mask:0xf// 0000000218BC: 0BE504FA FF00AAFC
	v_mul_f32_dpp v243, v252, v131 quad_perm:[3,3,3,3] row_mask:0xf bank_mask:0xf// 0000000218C4: 0BE706FA FF00FFFC
	v_mul_f32_dpp v244, v253, v132 quad_perm:[0,0,0,0] row_mask:0xf bank_mask:0xf// 0000000218CC: 0BE908FA FF0000FD
	v_mul_f32_dpp v245, v253, v133 quad_perm:[1,1,1,1] row_mask:0xf bank_mask:0xf// 0000000218D4: 0BEB0AFA FF0055FD
	v_mul_f32_dpp v246, v253, v134 quad_perm:[2,2,2,2] row_mask:0xf bank_mask:0xf// 0000000218DC: 0BED0CFA FF00AAFD
	v_mul_f32_dpp v247, v253, v135 quad_perm:[3,3,3,3] row_mask:0xf bank_mask:0xf// 0000000218E4: 0BEF0EFA FF00FFFD
	v_mul_f32_dpp v248, v254, v136 quad_perm:[0,0,0,0] row_mask:0xf bank_mask:0xf// 0000000218EC: 0BF110FA FF0000FE
	v_mul_f32_dpp v249, v254, v137 quad_perm:[1,1,1,1] row_mask:0xf bank_mask:0xf// 0000000218F4: 0BF312FA FF0055FE
	v_mul_f32_dpp v250, v254, v138 quad_perm:[2,2,2,2] row_mask:0xf bank_mask:0xf// 0000000218FC: 0BF514FA FF00AAFE
	v_mul_f32_dpp v251, v254, v139 quad_perm:[3,3,3,3] row_mask:0xf bank_mask:0xf// 000000021904: 0BF716FA FF00FFFE
	v_mul_f32_dpp v252, v255, v140 quad_perm:[0,0,0,0] row_mask:0xf bank_mask:0xf// 00000002190C: 0BF918FA FF0000FF
	v_mul_f32_dpp v253, v255, v141 quad_perm:[1,1,1,1] row_mask:0xf bank_mask:0xf// 000000021914: 0BFB1AFA FF0055FF
	v_mul_f32_dpp v254, v255, v142 quad_perm:[2,2,2,2] row_mask:0xf bank_mask:0xf// 00000002191C: 0BFD1CFA FF00AAFF
	v_mul_f32_dpp v255, v255, v143 quad_perm:[3,3,3,3] row_mask:0xf bank_mask:0xf// 000000021924: 0BFF1EFA FF00FFFF
	v_mov_b32_e32 v48, 0x358637bd                              // 00000002192C: 7E6002FF 358637BD
	v_max3_f32 v48, |v240|, |v241|, v48                        // 000000021934: D1D30330 04C3E3F0
	v_max3_f32 v48, |v242|, |v243|, v48                        // 00000002193C: D1D30330 04C3E7F2
	v_max3_f32 v48, |v244|, |v245|, v48                        // 000000021944: D1D30330 04C3EBF4
	v_max3_f32 v48, |v246|, |v247|, v48                        // 00000002194C: D1D30330 04C3EFF6
	v_max3_f32 v48, |v248|, |v249|, v48                        // 000000021954: D1D30330 04C3F3F8
	v_max3_f32 v48, |v250|, |v251|, v48                        // 00000002195C: D1D30330 04C3F7FA
	v_max3_f32 v48, |v252|, |v253|, v48                        // 000000021964: D1D30330 04C3FBFC
	v_max3_f32 v48, |v254|, |v255|, v48                        // 00000002196C: D1D30330 04C3FFFE
	ds_write_b32 v8, v48 offset:20992                          // 000000021974: D81A5200 00003008
	v_sub_f32_e32 v50, v12, v15                                // 00000002197C: 04641F0C
	v_cndmask_b32_e64 v50, v50, 0, s[40:41]                    // 000000021980: D1000032 00A10132
	v_mov_b32_e32 v12, v15                                     // 000000021988: 7E18030F
	v_mul_f32_e32 v50, s64, v50                                // 00000002198C: 0A646440
	v_exp_f32_e32 v50, v50                                     // 000000021990: 7E644132
	s_waitcnt lgkmcnt(0)                                       // 000000021994: BF8CC07F
	s_barrier                                                  // 000000021998: BF8A0000
	ds_read_b32 v64, v7 offset:20992                           // 00000002199C: D86C5200 40000007
	ds_read_b32 v65, v7 offset:21056                           // 0000000219A4: D86C5240 41000007
	ds_read_b32 v66, v7 offset:21120                           // 0000000219AC: D86C5280 42000007
	ds_read_b32 v67, v7 offset:21184                           // 0000000219B4: D86C52C0 43000007
	ds_read_b32 v68, v7 offset:21248                           // 0000000219BC: D86C5300 44000007
	ds_read_b32 v69, v7 offset:21312                           // 0000000219C4: D86C5340 45000007
	ds_read_b32 v70, v7 offset:21376                           // 0000000219CC: D86C5380 46000007
	ds_read_b32 v71, v7 offset:21440                           // 0000000219D4: D86C53C0 47000007
	ds_read_b32 v72, v7 offset:21504                           // 0000000219DC: D86C5400 48000007
	ds_read_b32 v73, v7 offset:21568                           // 0000000219E4: D86C5440 49000007
	ds_read_b32 v74, v7 offset:21632                           // 0000000219EC: D86C5480 4A000007
	ds_read_b32 v75, v7 offset:21696                           // 0000000219F4: D86C54C0 4B000007
	ds_read_b32 v76, v7 offset:21760                           // 0000000219FC: D86C5500 4C000007
	ds_read_b32 v77, v7 offset:21824                           // 000000021A04: D86C5540 4D000007
	ds_read_b32 v78, v7 offset:21888                           // 000000021A0C: D86C5580 4E000007
	ds_read_b32 v79, v7 offset:21952                           // 000000021A14: D86C55C0 4F000007
	v_mul_f32_e32 v39, v50, v39                                // 000000021A1C: 0A4E4F32
	v_mov_b32_e32 v15, v128                                    // 000000021A20: 7E1E0380
	v_add_f32_e32 v15, v129, v15                               // 000000021A24: 021E1F81
	v_add_f32_e32 v15, v130, v15                               // 000000021A28: 021E1F82
	v_add_f32_e32 v15, v131, v15                               // 000000021A2C: 021E1F83
	v_add_f32_e32 v15, v132, v15                               // 000000021A30: 021E1F84
	v_add_f32_e32 v15, v133, v15                               // 000000021A34: 021E1F85
	v_add_f32_e32 v15, v134, v15                               // 000000021A38: 021E1F86
	v_add_f32_e32 v15, v135, v15                               // 000000021A3C: 021E1F87
	v_add_f32_e32 v15, v136, v15                               // 000000021A40: 021E1F88
	v_add_f32_e32 v15, v137, v15                               // 000000021A44: 021E1F89
	v_add_f32_e32 v15, v138, v15                               // 000000021A48: 021E1F8A
	v_add_f32_e32 v15, v139, v15                               // 000000021A4C: 021E1F8B
	v_add_f32_e32 v15, v140, v15                               // 000000021A50: 021E1F8C
	v_add_f32_e32 v15, v141, v15                               // 000000021A54: 021E1F8D
	v_add_f32_e32 v15, v142, v15                               // 000000021A58: 021E1F8E
	v_add_f32_e32 v15, v143, v15                               // 000000021A5C: 021E1F8F
	v_add_f32_e32 v39, v15, v39                                // 000000021A60: 024E4F0F
	s_waitcnt lgkmcnt(0)                                       // 000000021A64: BF8CC07F
	v_max3_f32 v48, |v64|, |v65|, v48                          // 000000021A68: D1D30330 04C28340
	v_max3_f32 v48, |v66|, |v67|, v48                          // 000000021A70: D1D30330 04C28742
	v_max3_f32 v48, |v68|, |v69|, v48                          // 000000021A78: D1D30330 04C28B44
	v_max3_f32 v48, |v70|, |v71|, v48                          // 000000021A80: D1D30330 04C28F46
	v_max3_f32 v48, |v72|, |v73|, v48                          // 000000021A88: D1D30330 04C29348
	v_max3_f32 v48, |v74|, |v75|, v48                          // 000000021A90: D1D30330 04C2974A
	v_max3_f32 v48, |v76|, |v77|, v48                          // 000000021A98: D1D30330 04C29B4C
	v_max3_f32 v48, |v78|, |v79|, v48                          // 000000021AA0: D1D30330 04C29F4E
	s_nop 2                                                    // 000000021AA8: BF800002
	v_rcp_f32_e32 v48, v48                                     // 000000021AAC: 7E604530
	s_nop 1                                                    // 000000021AB0: BF800001
	v_mul_f32_e32 v48, 0x43e00000, v48                         // 000000021AB4: 0A6060FF 43E00000
	v_mul_f32_e32 v128, v48, v240                              // 000000021ABC: 0B01E130
	v_mul_f32_e32 v129, v48, v241                              // 000000021AC0: 0B03E330
	v_mul_f32_e32 v130, v48, v242                              // 000000021AC4: 0B05E530
	v_mul_f32_e32 v131, v48, v243                              // 000000021AC8: 0B07E730
	v_mul_f32_e32 v132, v48, v244                              // 000000021ACC: 0B09E930
	v_mul_f32_e32 v133, v48, v245                              // 000000021AD0: 0B0BEB30
	v_mul_f32_e32 v134, v48, v246                              // 000000021AD4: 0B0DED30
	v_mul_f32_e32 v135, v48, v247                              // 000000021AD8: 0B0FEF30
	v_mul_f32_e32 v136, v48, v248                              // 000000021ADC: 0B11F130
	v_mul_f32_e32 v137, v48, v249                              // 000000021AE0: 0B13F330
	v_mul_f32_e32 v138, v48, v250                              // 000000021AE4: 0B15F530
	v_mul_f32_e32 v139, v48, v251                              // 000000021AE8: 0B17F730
	v_mul_f32_e32 v140, v48, v252                              // 000000021AEC: 0B19F930
	v_mul_f32_e32 v141, v48, v253                              // 000000021AF0: 0B1BFB30
	v_mul_f32_e32 v142, v48, v254                              // 000000021AF4: 0B1DFD30
	v_mul_f32_e32 v143, v48, v255                              // 000000021AF8: 0B1FFF30
	v_cvt_pk_fp8_f32 v128, v128, v129                          // 000000021AFC: D2A20080 00030380
	v_cvt_pk_fp8_f32 v128, v130, v131 op_sel:[0,0,1]           // 000000021B04: D2A24080 00030782
	v_cvt_pk_fp8_f32 v129, v132, v133                          // 000000021B0C: D2A20081 00030B84
	v_cvt_pk_fp8_f32 v129, v134, v135 op_sel:[0,0,1]           // 000000021B14: D2A24081 00030F86
	v_cvt_pk_fp8_f32 v130, v136, v137                          // 000000021B1C: D2A20082 00031388
	v_cvt_pk_fp8_f32 v130, v138, v139 op_sel:[0,0,1]           // 000000021B24: D2A24082 0003178A
	v_cvt_pk_fp8_f32 v131, v140, v141                          // 000000021B2C: D2A20083 00031B8C
	v_cvt_pk_fp8_f32 v131, v142, v143 op_sel:[0,0,1]           // 000000021B34: D2A24083 00031F8E
	ds_write_b32 v10, v128 offset:29184                        // 000000021B3C: D81A7200 0000800A
	ds_write_b32 v10, v129 offset:30208                        // 000000021B44: D81A7600 0000810A
	ds_write_b32 v10, v130 offset:31232                        // 000000021B4C: D81A7A00 0000820A
	ds_write_b32 v10, v131 offset:32256                        // 000000021B54: D81A7E00 0000830A
	v_add_f32_e32 v216, v216, v184                             // 000000021B5C: 03B171D8
	v_add_f32_e32 v217, v217, v185                             // 000000021B60: 03B373D9
	v_add_f32_e32 v218, v218, v186                             // 000000021B64: 03B575DA
	v_add_f32_e32 v219, v219, v187                             // 000000021B68: 03B777DB
	v_add_f32_e32 v220, v220, v188                             // 000000021B6C: 03B979DC
	v_add_f32_e32 v221, v221, v189                             // 000000021B70: 03BB7BDD
	v_add_f32_e32 v222, v222, v190                             // 000000021B74: 03BD7DDE
	v_add_f32_e32 v223, v223, v191                             // 000000021B78: 03BF7FDF
	v_rcp_f32_e32 v45, v48                                     // 000000021B7C: 7E5A4530
	s_waitcnt lgkmcnt(0)                                       // 000000021B80: BF8CC07F
	s_barrier                                                  // 000000021B84: BF8A0000
	ds_read_b64 v[128:129], v9 offset:29184                    // 000000021B88: D8EC7200 80000009
	ds_read_b64 v[130:131], v9 offset:29312                    // 000000021B90: D8EC7280 82000009
	ds_read_b64 v[132:133], v9 offset:30208                    // 000000021B98: D8EC7600 84000009
	ds_read_b64 v[134:135], v9 offset:30336                    // 000000021BA0: D8EC7680 86000009
	ds_read_b64 v[136:137], v9 offset:31232                    // 000000021BA8: D8EC7A00 88000009
	ds_read_b64 v[138:139], v9 offset:31360                    // 000000021BB0: D8EC7A80 8A000009
	ds_read_b64 v[140:141], v9 offset:32256                    // 000000021BB8: D8EC7E00 8C000009
	ds_read_b64 v[142:143], v9 offset:32384                    // 000000021BC0: D8EC7E80 8E000009
	v_mov_b32_dpp v64, v43 row_shr:4 row_mask:0xf bank_mask:0xf// 000000021BC8: 7E8002FA FF01142B
	v_mov_b32_dpp v65, v43 row_shl:4 row_mask:0xf bank_mask:0xf// 000000021BD0: 7E8202FA FF01042B
	v_cndmask_b32_e64 v248, v43, v64, s[44:45]                 // 000000021BD8: D10000F8 00B2812B
	v_cndmask_b32_e64 v249, v65, v43, s[44:45]                 // 000000021BE0: D10000F9 00B25741
	v_mov_b32_dpp v64, v248 row_shr:8 row_mask:0xf bank_mask:0xf// 000000021BE8: 7E8002FA FF0118F8
	v_mov_b32_dpp v65, v248 row_shl:8 row_mask:0xf bank_mask:0xf// 000000021BF0: 7E8202FA FF0108F8
	v_mov_b32_dpp v66, v249 row_shr:8 row_mask:0xf bank_mask:0xf// 000000021BF8: 7E8402FA FF0118F9
	v_mov_b32_dpp v67, v249 row_shl:8 row_mask:0xf bank_mask:0xf// 000000021C00: 7E8602FA FF0108F9
	v_mov_b32_e32 v68, v248                                    // 000000021C08: 7E8803F8
	v_mov_b32_e32 v69, v249                                    // 000000021C0C: 7E8A03F9
	v_cndmask_b32_e64 v248, v68, v64, s[42:43]                 // 000000021C10: D10000F8 00AA8144
	v_cndmask_b32_e64 v250, v68, v65, s[78:79]                 // 000000021C18: D10000FA 013A8344
	v_cndmask_b32_e64 v249, v69, v66, s[42:43]                 // 000000021C20: D10000F9 00AA8545
	v_cndmask_b32_e64 v251, v69, v67, s[78:79]                 // 000000021C28: D10000FB 013A8745
	v_mov_b32_dpp v64, v58 row_shr:4 row_mask:0xf bank_mask:0xf// 000000021C30: 7E8002FA FF01143A
	v_mov_b32_dpp v65, v58 row_shl:4 row_mask:0xf bank_mask:0xf// 000000021C38: 7E8202FA FF01043A
	v_cndmask_b32_e64 v252, v58, v64, s[44:45]                 // 000000021C40: D10000FC 00B2813A
	v_cndmask_b32_e64 v253, v65, v58, s[44:45]                 // 000000021C48: D10000FD 00B27541
	v_mov_b32_dpp v64, v252 row_shr:8 row_mask:0xf bank_mask:0xf// 000000021C50: 7E8002FA FF0118FC
	v_mov_b32_dpp v65, v252 row_shl:8 row_mask:0xf bank_mask:0xf// 000000021C58: 7E8202FA FF0108FC
	v_mov_b32_dpp v66, v253 row_shr:8 row_mask:0xf bank_mask:0xf// 000000021C60: 7E8402FA FF0118FD
	v_mov_b32_dpp v67, v253 row_shl:8 row_mask:0xf bank_mask:0xf// 000000021C68: 7E8602FA FF0108FD
	v_mov_b32_e32 v68, v252                                    // 000000021C70: 7E8803FC
	v_mov_b32_e32 v69, v253                                    // 000000021C74: 7E8A03FD
	v_cndmask_b32_e64 v252, v68, v64, s[42:43]                 // 000000021C78: D10000FC 00AA8144
	v_cndmask_b32_e64 v254, v68, v65, s[78:79]                 // 000000021C80: D10000FE 013A8344
	v_cndmask_b32_e64 v253, v69, v66, s[42:43]                 // 000000021C88: D10000FD 00AA8545
	v_cndmask_b32_e64 v255, v69, v67, s[78:79]                 // 000000021C90: D10000FF 013A8745
	v_mul_f32_e32 v144, v20, v144                              // 000000021C98: 0B212114
	v_mul_f32_e32 v145, v20, v145                              // 000000021C9C: 0B232314
	v_mul_f32_e32 v146, v20, v146                              // 000000021CA0: 0B252514
	v_mul_f32_e32 v147, v20, v147                              // 000000021CA4: 0B272714
	v_mul_f32_e32 v148, v20, v148                              // 000000021CA8: 0B292914
	v_mul_f32_e32 v149, v20, v149                              // 000000021CAC: 0B2B2B14
	v_mul_f32_e32 v150, v20, v150                              // 000000021CB0: 0B2D2D14
	v_mul_f32_e32 v151, v20, v151                              // 000000021CB4: 0B2F2F14
	v_mul_f32_e32 v152, v20, v152                              // 000000021CB8: 0B313114
	v_mul_f32_e32 v153, v20, v153                              // 000000021CBC: 0B333314
	v_mul_f32_e32 v154, v20, v154                              // 000000021CC0: 0B353514
	v_mul_f32_e32 v155, v20, v155                              // 000000021CC4: 0B373714
	v_mul_f32_e32 v156, v20, v156                              // 000000021CC8: 0B393914
	v_mul_f32_e32 v157, v20, v157                              // 000000021CCC: 0B3B3B14
	v_mul_f32_e32 v158, v20, v158                              // 000000021CD0: 0B3D3D14
	v_mul_f32_e32 v159, v20, v159                              // 000000021CD4: 0B3F3F14
	v_mul_f32_dpp v144, v248, v144 quad_perm:[0,0,0,0] row_mask:0xf bank_mask:0xf// 000000021CD8: 0B2120FA FF0000F8
	v_mul_f32_dpp v145, v248, v145 quad_perm:[1,1,1,1] row_mask:0xf bank_mask:0xf// 000000021CE0: 0B2322FA FF0055F8
	v_mul_f32_dpp v146, v248, v146 quad_perm:[2,2,2,2] row_mask:0xf bank_mask:0xf// 000000021CE8: 0B2524FA FF00AAF8
	v_mul_f32_dpp v147, v248, v147 quad_perm:[3,3,3,3] row_mask:0xf bank_mask:0xf// 000000021CF0: 0B2726FA FF00FFF8
	v_mul_f32_dpp v148, v249, v148 quad_perm:[0,0,0,0] row_mask:0xf bank_mask:0xf// 000000021CF8: 0B2928FA FF0000F9
	v_mul_f32_dpp v149, v249, v149 quad_perm:[1,1,1,1] row_mask:0xf bank_mask:0xf// 000000021D00: 0B2B2AFA FF0055F9
	v_mul_f32_dpp v150, v249, v150 quad_perm:[2,2,2,2] row_mask:0xf bank_mask:0xf// 000000021D08: 0B2D2CFA FF00AAF9
	v_mul_f32_dpp v151, v249, v151 quad_perm:[3,3,3,3] row_mask:0xf bank_mask:0xf// 000000021D10: 0B2F2EFA FF00FFF9
	v_mul_f32_dpp v152, v250, v152 quad_perm:[0,0,0,0] row_mask:0xf bank_mask:0xf// 000000021D18: 0B3130FA FF0000FA
	v_mul_f32_dpp v153, v250, v153 quad_perm:[1,1,1,1] row_mask:0xf bank_mask:0xf// 000000021D20: 0B3332FA FF0055FA
	v_mul_f32_dpp v154, v250, v154 quad_perm:[2,2,2,2] row_mask:0xf bank_mask:0xf// 000000021D28: 0B3534FA FF00AAFA
	v_mul_f32_dpp v155, v250, v155 quad_perm:[3,3,3,3] row_mask:0xf bank_mask:0xf// 000000021D30: 0B3736FA FF00FFFA
	v_mul_f32_dpp v156, v251, v156 quad_perm:[0,0,0,0] row_mask:0xf bank_mask:0xf// 000000021D38: 0B3938FA FF0000FB
	v_mul_f32_dpp v157, v251, v157 quad_perm:[1,1,1,1] row_mask:0xf bank_mask:0xf// 000000021D40: 0B3B3AFA FF0055FB
	v_mul_f32_dpp v158, v251, v158 quad_perm:[2,2,2,2] row_mask:0xf bank_mask:0xf// 000000021D48: 0B3D3CFA FF00AAFB
	v_mul_f32_dpp v159, v251, v159 quad_perm:[3,3,3,3] row_mask:0xf bank_mask:0xf// 000000021D50: 0B3F3EFA FF00FFFB
	s_cmp_le_i32 s90, s89                                      // 000000021D58: BF05595A
	s_cbranch_scc1 label_7F49                                  // 000000021D5C: BF850071
	v_mov_b32_e32 v66, 0xff800000                              // 000000021D60: 7E8402FF FF800000
	s_mov_b32 s60, s90                                         // 000000021D68: BEBC005A
	s_add_u32 s61, s89, 0xff                                   // 000000021D6C: 803DFF59 000000FF
	v_mov_b32_e32 v64, s61                                     // 000000021D74: 7E80023D
	v_lshrrev_b32_e32 v240, 4, v0                              // 000000021D78: 21E00084
	v_mul_i32_i24_e32 v240, 4, v240                            // 000000021D7C: 0DE1E084
	v_add_u32_e32 v240, s60, v240                              // 000000021D80: 69E1E03C
	s_mov_b32 s61, 2                                           // 000000021D84: BEBD0082
	s_mul_i32 s60, 16, s7                                      // 000000021D88: 923C0790
	v_sub_u32_e64 v240, v240, s61                              // 000000021D8C: D13500F0 00007BF0
	v_add_u32_e32 v240, s60, v240                              // 000000021D94: 69E1E03C
	v_add_u32_e32 v241, 1, v240                                // 000000021D98: 69E3E081
	v_add_u32_e32 v242, 2, v240                                // 000000021D9C: 69E5E082
	v_add_u32_e32 v243, 3, v240                                // 000000021DA0: 69E7E083
	v_cmp_le_u32_e64 s[40:41], v240, v64                       // 000000021DA4: D0CB0028 000281F0
	v_add_u32_e32 v240, 64, v240                               // 000000021DAC: 69E1E0C0
	s_nop 0                                                    // 000000021DB0: BF800000
	v_cndmask_b32_e64 v144, v66, v144, s[40:41]                // 000000021DB4: D1000090 00A32142
	v_cmp_le_u32_e64 s[40:41], v241, v64                       // 000000021DBC: D0CB0028 000281F1
	v_add_u32_e32 v241, 64, v241                               // 000000021DC4: 69E3E2C0
	s_nop 0                                                    // 000000021DC8: BF800000
	v_cndmask_b32_e64 v145, v66, v145, s[40:41]                // 000000021DCC: D1000091 00A32342
	v_cmp_le_u32_e64 s[40:41], v242, v64                       // 000000021DD4: D0CB0028 000281F2
	v_add_u32_e32 v242, 64, v242                               // 000000021DDC: 69E5E4C0
	s_nop 0                                                    // 000000021DE0: BF800000
	v_cndmask_b32_e64 v146, v66, v146, s[40:41]                // 000000021DE4: D1000092 00A32542
	v_cmp_le_u32_e64 s[40:41], v243, v64                       // 000000021DEC: D0CB0028 000281F3
	v_add_u32_e32 v243, 64, v243                               // 000000021DF4: 69E7E6C0
	s_nop 0                                                    // 000000021DF8: BF800000
	v_cndmask_b32_e64 v147, v66, v147, s[40:41]                // 000000021DFC: D1000093 00A32742
	v_cmp_le_u32_e64 s[40:41], v240, v64                       // 000000021E04: D0CB0028 000281F0
	v_add_u32_e32 v240, 64, v240                               // 000000021E0C: 69E1E0C0
	s_nop 0                                                    // 000000021E10: BF800000
	v_cndmask_b32_e64 v148, v66, v148, s[40:41]                // 000000021E14: D1000094 00A32942
	v_cmp_le_u32_e64 s[40:41], v241, v64                       // 000000021E1C: D0CB0028 000281F1
	v_add_u32_e32 v241, 64, v241                               // 000000021E24: 69E3E2C0
	s_nop 0                                                    // 000000021E28: BF800000
	v_cndmask_b32_e64 v149, v66, v149, s[40:41]                // 000000021E2C: D1000095 00A32B42
	v_cmp_le_u32_e64 s[40:41], v242, v64                       // 000000021E34: D0CB0028 000281F2
	v_add_u32_e32 v242, 64, v242                               // 000000021E3C: 69E5E4C0
	s_nop 0                                                    // 000000021E40: BF800000
	v_cndmask_b32_e64 v150, v66, v150, s[40:41]                // 000000021E44: D1000096 00A32D42
	v_cmp_le_u32_e64 s[40:41], v243, v64                       // 000000021E4C: D0CB0028 000281F3
	v_add_u32_e32 v243, 64, v243                               // 000000021E54: 69E7E6C0
	s_nop 0                                                    // 000000021E58: BF800000
	v_cndmask_b32_e64 v151, v66, v151, s[40:41]                // 000000021E5C: D1000097 00A32F42
	v_cmp_le_u32_e64 s[40:41], v240, v64                       // 000000021E64: D0CB0028 000281F0
	v_add_u32_e32 v240, 64, v240                               // 000000021E6C: 69E1E0C0
	s_nop 0                                                    // 000000021E70: BF800000
	v_cndmask_b32_e64 v152, v66, v152, s[40:41]                // 000000021E74: D1000098 00A33142
	v_cmp_le_u32_e64 s[40:41], v241, v64                       // 000000021E7C: D0CB0028 000281F1
	v_add_u32_e32 v241, 64, v241                               // 000000021E84: 69E3E2C0
	s_nop 0                                                    // 000000021E88: BF800000
	v_cndmask_b32_e64 v153, v66, v153, s[40:41]                // 000000021E8C: D1000099 00A33342
	v_cmp_le_u32_e64 s[40:41], v242, v64                       // 000000021E94: D0CB0028 000281F2
	v_add_u32_e32 v242, 64, v242                               // 000000021E9C: 69E5E4C0
	s_nop 0                                                    // 000000021EA0: BF800000
	v_cndmask_b32_e64 v154, v66, v154, s[40:41]                // 000000021EA4: D100009A 00A33542
	v_cmp_le_u32_e64 s[40:41], v243, v64                       // 000000021EAC: D0CB0028 000281F3
	v_add_u32_e32 v243, 64, v243                               // 000000021EB4: 69E7E6C0
	s_nop 0                                                    // 000000021EB8: BF800000
	v_cndmask_b32_e64 v155, v66, v155, s[40:41]                // 000000021EBC: D100009B 00A33742
	v_cmp_le_u32_e64 s[40:41], v240, v64                       // 000000021EC4: D0CB0028 000281F0
	v_add_u32_e32 v240, 64, v240                               // 000000021ECC: 69E1E0C0
	s_nop 0                                                    // 000000021ED0: BF800000
	v_cndmask_b32_e64 v156, v66, v156, s[40:41]                // 000000021ED4: D100009C 00A33942
	v_cmp_le_u32_e64 s[40:41], v241, v64                       // 000000021EDC: D0CB0028 000281F1
	v_add_u32_e32 v241, 64, v241                               // 000000021EE4: 69E3E2C0
	s_nop 0                                                    // 000000021EE8: BF800000
	v_cndmask_b32_e64 v157, v66, v157, s[40:41]                // 000000021EEC: D100009D 00A33B42
	v_cmp_le_u32_e64 s[40:41], v242, v64                       // 000000021EF4: D0CB0028 000281F2
	v_add_u32_e32 v242, 64, v242                               // 000000021EFC: 69E5E4C0
	s_nop 0                                                    // 000000021F00: BF800000
	v_cndmask_b32_e64 v158, v66, v158, s[40:41]                // 000000021F04: D100009E 00A33D42
	v_cmp_le_u32_e64 s[40:41], v243, v64                       // 000000021F0C: D0CB0028 000281F3
	v_add_u32_e32 v243, 64, v243                               // 000000021F14: 69E7E6C0
	s_nop 0                                                    // 000000021F18: BF800000
	v_cndmask_b32_e64 v159, v66, v159, s[40:41]                // 000000021F1C: D100009F 00A33F42

0000000000021f24 <label_7F49>:
	v_mov_b32_e32 v48, v144                                    // 000000021F24: 7E600390
	v_max3_f32 v48, v144, v145, v48                            // 000000021F28: D1D30030 04C32390
	v_max3_f32 v48, v146, v147, v48                            // 000000021F30: D1D30030 04C32792
	v_max3_f32 v48, v148, v149, v48                            // 000000021F38: D1D30030 04C32B94
	v_max3_f32 v48, v150, v151, v48                            // 000000021F40: D1D30030 04C32F96
	v_max3_f32 v48, v152, v153, v48                            // 000000021F48: D1D30030 04C33398
	v_max3_f32 v48, v154, v155, v48                            // 000000021F50: D1D30030 04C3379A
	v_max3_f32 v48, v156, v157, v48                            // 000000021F58: D1D30030 04C33B9C
	v_max3_f32 v48, v158, v159, v48                            // 000000021F60: D1D30030 04C33F9E
	ds_write_b32 v8, v48 offset:16896                          // 000000021F68: D81A4200 00003008
	v_mul_f32_e32 v224, v51, v224                              // 000000021F70: 0BC1C133
	v_mul_f32_e32 v225, v51, v225                              // 000000021F74: 0BC3C333
	v_mul_f32_e32 v226, v51, v226                              // 000000021F78: 0BC5C533
	v_mul_f32_e32 v227, v51, v227                              // 000000021F7C: 0BC7C733
	v_mul_f32_e32 v228, v51, v228                              // 000000021F80: 0BC9C933
	v_mul_f32_e32 v229, v51, v229                              // 000000021F84: 0BCBCB33
	v_mul_f32_e32 v230, v51, v230                              // 000000021F88: 0BCDCD33
	v_mul_f32_e32 v231, v51, v231                              // 000000021F8C: 0BCFCF33
	s_waitcnt lgkmcnt(0)                                       // 000000021F90: BF8CC07F
	s_barrier                                                  // 000000021F94: BF8A0000
	ds_read_b32 v64, v7 offset:16896                           // 000000021F98: D86C4200 40000007
	ds_read_b32 v65, v7 offset:16960                           // 000000021FA0: D86C4240 41000007
	ds_read_b32 v66, v7 offset:17024                           // 000000021FA8: D86C4280 42000007
	ds_read_b32 v67, v7 offset:17088                           // 000000021FB0: D86C42C0 43000007
	ds_read_b32 v68, v7 offset:17152                           // 000000021FB8: D86C4300 44000007
	ds_read_b32 v69, v7 offset:17216                           // 000000021FC0: D86C4340 45000007
	ds_read_b32 v70, v7 offset:17280                           // 000000021FC8: D86C4380 46000007
	ds_read_b32 v71, v7 offset:17344                           // 000000021FD0: D86C43C0 47000007
	ds_read_b32 v72, v7 offset:17408                           // 000000021FD8: D86C4400 48000007
	ds_read_b32 v73, v7 offset:17472                           // 000000021FE0: D86C4440 49000007
	ds_read_b32 v74, v7 offset:17536                           // 000000021FE8: D86C4480 4A000007
	ds_read_b32 v75, v7 offset:17600                           // 000000021FF0: D86C44C0 4B000007
	ds_read_b32 v76, v7 offset:17664                           // 000000021FF8: D86C4500 4C000007
	ds_read_b32 v77, v7 offset:17728                           // 000000022000: D86C4540 4D000007
	ds_read_b32 v78, v7 offset:17792                           // 000000022008: D86C4580 4E000007
	ds_read_b32 v79, v7 offset:17856                           // 000000022010: D86C45C0 4F000007
	v_mul_f32_e32 v192, v46, v192                              // 000000022018: 0B81812E
	v_mul_f32_e32 v193, v46, v193                              // 00000002201C: 0B83832E
	v_mul_f32_e32 v194, v46, v194                              // 000000022020: 0B85852E
	v_mul_f32_e32 v195, v46, v195                              // 000000022024: 0B87872E
	v_mul_f32_e32 v196, v46, v196                              // 000000022028: 0B89892E
	v_mul_f32_e32 v197, v46, v197                              // 00000002202C: 0B8B8B2E
	v_mul_f32_e32 v198, v46, v198                              // 000000022030: 0B8D8D2E
	v_mul_f32_e32 v199, v46, v199                              // 000000022034: 0B8F8F2E
	s_waitcnt lgkmcnt(0)                                       // 000000022038: BF8CC07F
	v_max3_f32 v48, v64, v65, v48                              // 00000002203C: D1D30030 04C28340
	v_max3_f32 v48, v66, v67, v48                              // 000000022044: D1D30030 04C28742
	v_max3_f32 v48, v68, v69, v48                              // 00000002204C: D1D30030 04C28B44
	v_max3_f32 v48, v70, v71, v48                              // 000000022054: D1D30030 04C28F46
	v_max3_f32 v48, v72, v73, v48                              // 00000002205C: D1D30030 04C29348
	v_max3_f32 v48, v74, v75, v48                              // 000000022064: D1D30030 04C2974A
	v_max3_f32 v48, v76, v77, v48                              // 00000002206C: D1D30030 04C29B4C
	v_max3_f32 v48, v78, v79, v48                              // 000000022074: D1D30030 04C29F4E
	v_mov_b32_e32 v64, 0xff800000                              // 00000002207C: 7E8002FF FF800000
	v_cmp_eq_u32_e64 s[40:41], v64, v13                        // 000000022084: D0CA0028 00021B40
	s_nop 1                                                    // 00000002208C: BF800001
	v_max_f32_e32 v15, v48, v13                                // 000000022090: 161E1B30
	v_mul_f32_e32 v53, s64, v15                                // 000000022094: 0A6A1E40
	v_fma_f32 v144, v144, s64, -v53                            // 000000022098: D1CB0090 84D48190
	v_fma_f32 v145, v145, s64, -v53                            // 0000000220A0: D1CB0091 84D48191
	v_fma_f32 v146, v146, s64, -v53                            // 0000000220A8: D1CB0092 84D48192
	v_fma_f32 v147, v147, s64, -v53                            // 0000000220B0: D1CB0093 84D48193
	v_fma_f32 v148, v148, s64, -v53                            // 0000000220B8: D1CB0094 84D48194
	v_fma_f32 v149, v149, s64, -v53                            // 0000000220C0: D1CB0095 84D48195
	v_fma_f32 v150, v150, s64, -v53                            // 0000000220C8: D1CB0096 84D48196
	v_fma_f32 v151, v151, s64, -v53                            // 0000000220D0: D1CB0097 84D48197
	v_fma_f32 v152, v152, s64, -v53                            // 0000000220D8: D1CB0098 84D48198
	v_fma_f32 v153, v153, s64, -v53                            // 0000000220E0: D1CB0099 84D48199
	v_fma_f32 v154, v154, s64, -v53                            // 0000000220E8: D1CB009A 84D4819A
	v_fma_f32 v155, v155, s64, -v53                            // 0000000220F0: D1CB009B 84D4819B
	v_fma_f32 v156, v156, s64, -v53                            // 0000000220F8: D1CB009C 84D4819C
	v_fma_f32 v157, v157, s64, -v53                            // 000000022100: D1CB009D 84D4819D
	v_fma_f32 v158, v158, s64, -v53                            // 000000022108: D1CB009E 84D4819E
	v_fma_f32 v159, v159, s64, -v53                            // 000000022110: D1CB009F 84D4819F
	v_exp_f32_e32 v144, v144                                   // 000000022118: 7F204190
	v_exp_f32_e32 v145, v145                                   // 00000002211C: 7F224191
	v_exp_f32_e32 v146, v146                                   // 000000022120: 7F244192
	v_exp_f32_e32 v147, v147                                   // 000000022124: 7F264193
	v_exp_f32_e32 v148, v148                                   // 000000022128: 7F284194
	v_exp_f32_e32 v149, v149                                   // 00000002212C: 7F2A4195
	v_exp_f32_e32 v150, v150                                   // 000000022130: 7F2C4196
	v_exp_f32_e32 v151, v151                                   // 000000022134: 7F2E4197
	v_exp_f32_e32 v152, v152                                   // 000000022138: 7F304198
	v_exp_f32_e32 v153, v153                                   // 00000002213C: 7F324199
	v_exp_f32_e32 v154, v154                                   // 000000022140: 7F34419A
	v_exp_f32_e32 v155, v155                                   // 000000022144: 7F36419B
	v_exp_f32_e32 v156, v156                                   // 000000022148: 7F38419C
	v_exp_f32_e32 v157, v157                                   // 00000002214C: 7F3A419D
	v_exp_f32_e32 v158, v158                                   // 000000022150: 7F3C419E
	v_exp_f32_e32 v159, v159                                   // 000000022154: 7F3E419F
	v_mul_f32_dpp v240, v252, v144 quad_perm:[0,0,0,0] row_mask:0xf bank_mask:0xf// 000000022158: 0BE120FA FF0000FC
	v_mul_f32_dpp v241, v252, v145 quad_perm:[1,1,1,1] row_mask:0xf bank_mask:0xf// 000000022160: 0BE322FA FF0055FC
	v_mul_f32_dpp v242, v252, v146 quad_perm:[2,2,2,2] row_mask:0xf bank_mask:0xf// 000000022168: 0BE524FA FF00AAFC
	v_mul_f32_dpp v243, v252, v147 quad_perm:[3,3,3,3] row_mask:0xf bank_mask:0xf// 000000022170: 0BE726FA FF00FFFC
	v_mul_f32_dpp v244, v253, v148 quad_perm:[0,0,0,0] row_mask:0xf bank_mask:0xf// 000000022178: 0BE928FA FF0000FD
	v_mul_f32_dpp v245, v253, v149 quad_perm:[1,1,1,1] row_mask:0xf bank_mask:0xf// 000000022180: 0BEB2AFA FF0055FD
	v_mul_f32_dpp v246, v253, v150 quad_perm:[2,2,2,2] row_mask:0xf bank_mask:0xf// 000000022188: 0BED2CFA FF00AAFD
	v_mul_f32_dpp v247, v253, v151 quad_perm:[3,3,3,3] row_mask:0xf bank_mask:0xf// 000000022190: 0BEF2EFA FF00FFFD
	v_mul_f32_dpp v248, v254, v152 quad_perm:[0,0,0,0] row_mask:0xf bank_mask:0xf// 000000022198: 0BF130FA FF0000FE
	v_mul_f32_dpp v249, v254, v153 quad_perm:[1,1,1,1] row_mask:0xf bank_mask:0xf// 0000000221A0: 0BF332FA FF0055FE
	v_mul_f32_dpp v250, v254, v154 quad_perm:[2,2,2,2] row_mask:0xf bank_mask:0xf// 0000000221A8: 0BF534FA FF00AAFE
	v_mul_f32_dpp v251, v254, v155 quad_perm:[3,3,3,3] row_mask:0xf bank_mask:0xf// 0000000221B0: 0BF736FA FF00FFFE
	v_mul_f32_dpp v252, v255, v156 quad_perm:[0,0,0,0] row_mask:0xf bank_mask:0xf// 0000000221B8: 0BF938FA FF0000FF
	v_mul_f32_dpp v253, v255, v157 quad_perm:[1,1,1,1] row_mask:0xf bank_mask:0xf// 0000000221C0: 0BFB3AFA FF0055FF
	v_mul_f32_dpp v254, v255, v158 quad_perm:[2,2,2,2] row_mask:0xf bank_mask:0xf// 0000000221C8: 0BFD3CFA FF00AAFF
	v_mul_f32_dpp v255, v255, v159 quad_perm:[3,3,3,3] row_mask:0xf bank_mask:0xf// 0000000221D0: 0BFF3EFA FF00FFFF
	v_mov_b32_e32 v48, 0x358637bd                              // 0000000221D8: 7E6002FF 358637BD
	v_max3_f32 v48, |v240|, |v241|, v48                        // 0000000221E0: D1D30330 04C3E3F0
	v_max3_f32 v48, |v242|, |v243|, v48                        // 0000000221E8: D1D30330 04C3E7F2
	v_max3_f32 v48, |v244|, |v245|, v48                        // 0000000221F0: D1D30330 04C3EBF4
	v_max3_f32 v48, |v246|, |v247|, v48                        // 0000000221F8: D1D30330 04C3EFF6
	v_max3_f32 v48, |v248|, |v249|, v48                        // 000000022200: D1D30330 04C3F3F8
	v_max3_f32 v48, |v250|, |v251|, v48                        // 000000022208: D1D30330 04C3F7FA
	v_max3_f32 v48, |v252|, |v253|, v48                        // 000000022210: D1D30330 04C3FBFC
	v_max3_f32 v48, |v254|, |v255|, v48                        // 000000022218: D1D30330 04C3FFFE
	ds_write_b32 v8, v48 offset:20992                          // 000000022220: D81A5200 00003008
	v_sub_f32_e32 v51, v13, v15                                // 000000022228: 04661F0D
	v_cndmask_b32_e64 v51, v51, 0, s[40:41]                    // 00000002222C: D1000033 00A10133
	v_mov_b32_e32 v13, v15                                     // 000000022234: 7E1A030F
	v_mul_f32_e32 v51, s64, v51                                // 000000022238: 0A666640
	v_exp_f32_e32 v51, v51                                     // 00000002223C: 7E664133
	s_waitcnt lgkmcnt(0)                                       // 000000022240: BF8CC07F
	s_barrier                                                  // 000000022244: BF8A0000
	ds_read_b32 v64, v7 offset:20992                           // 000000022248: D86C5200 40000007
	ds_read_b32 v65, v7 offset:21056                           // 000000022250: D86C5240 41000007
	ds_read_b32 v66, v7 offset:21120                           // 000000022258: D86C5280 42000007
	ds_read_b32 v67, v7 offset:21184                           // 000000022260: D86C52C0 43000007
	ds_read_b32 v68, v7 offset:21248                           // 000000022268: D86C5300 44000007
	ds_read_b32 v69, v7 offset:21312                           // 000000022270: D86C5340 45000007
	ds_read_b32 v70, v7 offset:21376                           // 000000022278: D86C5380 46000007
	ds_read_b32 v71, v7 offset:21440                           // 000000022280: D86C53C0 47000007
	ds_read_b32 v72, v7 offset:21504                           // 000000022288: D86C5400 48000007
	ds_read_b32 v73, v7 offset:21568                           // 000000022290: D86C5440 49000007
	ds_read_b32 v74, v7 offset:21632                           // 000000022298: D86C5480 4A000007
	ds_read_b32 v75, v7 offset:21696                           // 0000000222A0: D86C54C0 4B000007
	ds_read_b32 v76, v7 offset:21760                           // 0000000222A8: D86C5500 4C000007
	ds_read_b32 v77, v7 offset:21824                           // 0000000222B0: D86C5540 4D000007
	ds_read_b32 v78, v7 offset:21888                           // 0000000222B8: D86C5580 4E000007
	ds_read_b32 v79, v7 offset:21952                           // 0000000222C0: D86C55C0 4F000007
	v_mul_f32_e32 v40, v51, v40                                // 0000000222C8: 0A505133
	v_mov_b32_e32 v15, v144                                    // 0000000222CC: 7E1E0390
	v_add_f32_e32 v15, v145, v15                               // 0000000222D0: 021E1F91
	v_add_f32_e32 v15, v146, v15                               // 0000000222D4: 021E1F92
	v_add_f32_e32 v15, v147, v15                               // 0000000222D8: 021E1F93
	v_add_f32_e32 v15, v148, v15                               // 0000000222DC: 021E1F94
	v_add_f32_e32 v15, v149, v15                               // 0000000222E0: 021E1F95
	v_add_f32_e32 v15, v150, v15                               // 0000000222E4: 021E1F96
	v_add_f32_e32 v15, v151, v15                               // 0000000222E8: 021E1F97
	v_add_f32_e32 v15, v152, v15                               // 0000000222EC: 021E1F98
	v_add_f32_e32 v15, v153, v15                               // 0000000222F0: 021E1F99
	v_add_f32_e32 v15, v154, v15                               // 0000000222F4: 021E1F9A
	v_add_f32_e32 v15, v155, v15                               // 0000000222F8: 021E1F9B
	v_add_f32_e32 v15, v156, v15                               // 0000000222FC: 021E1F9C
	v_add_f32_e32 v15, v157, v15                               // 000000022300: 021E1F9D
	v_add_f32_e32 v15, v158, v15                               // 000000022304: 021E1F9E
	v_add_f32_e32 v15, v159, v15                               // 000000022308: 021E1F9F
	v_add_f32_e32 v40, v15, v40                                // 00000002230C: 0250510F
	s_waitcnt lgkmcnt(0)                                       // 000000022310: BF8CC07F
	v_max3_f32 v48, |v64|, |v65|, v48                          // 000000022314: D1D30330 04C28340
	v_max3_f32 v48, |v66|, |v67|, v48                          // 00000002231C: D1D30330 04C28742
	v_max3_f32 v48, |v68|, |v69|, v48                          // 000000022324: D1D30330 04C28B44
	v_max3_f32 v48, |v70|, |v71|, v48                          // 00000002232C: D1D30330 04C28F46
	v_max3_f32 v48, |v72|, |v73|, v48                          // 000000022334: D1D30330 04C29348
	v_max3_f32 v48, |v74|, |v75|, v48                          // 00000002233C: D1D30330 04C2974A
	v_max3_f32 v48, |v76|, |v77|, v48                          // 000000022344: D1D30330 04C29B4C
	v_max3_f32 v48, |v78|, |v79|, v48                          // 00000002234C: D1D30330 04C29F4E
	s_nop 2                                                    // 000000022354: BF800002
	v_rcp_f32_e32 v48, v48                                     // 000000022358: 7E604530
	s_nop 1                                                    // 00000002235C: BF800001
	v_mul_f32_e32 v48, 0x43e00000, v48                         // 000000022360: 0A6060FF 43E00000
	v_mul_f32_e32 v144, v48, v240                              // 000000022368: 0B21E130
	v_mul_f32_e32 v145, v48, v241                              // 00000002236C: 0B23E330
	v_mul_f32_e32 v146, v48, v242                              // 000000022370: 0B25E530
	v_mul_f32_e32 v147, v48, v243                              // 000000022374: 0B27E730
	v_mul_f32_e32 v148, v48, v244                              // 000000022378: 0B29E930
	v_mul_f32_e32 v149, v48, v245                              // 00000002237C: 0B2BEB30
	v_mul_f32_e32 v150, v48, v246                              // 000000022380: 0B2DED30
	v_mul_f32_e32 v151, v48, v247                              // 000000022384: 0B2FEF30
	v_mul_f32_e32 v152, v48, v248                              // 000000022388: 0B31F130
	v_mul_f32_e32 v153, v48, v249                              // 00000002238C: 0B33F330
	v_mul_f32_e32 v154, v48, v250                              // 000000022390: 0B35F530
	v_mul_f32_e32 v155, v48, v251                              // 000000022394: 0B37F730
	v_mul_f32_e32 v156, v48, v252                              // 000000022398: 0B39F930
	v_mul_f32_e32 v157, v48, v253                              // 00000002239C: 0B3BFB30
	v_mul_f32_e32 v158, v48, v254                              // 0000000223A0: 0B3DFD30
	v_mul_f32_e32 v159, v48, v255                              // 0000000223A4: 0B3FFF30
	v_cvt_pk_fp8_f32 v144, v144, v145                          // 0000000223A8: D2A20090 00032390
	v_cvt_pk_fp8_f32 v144, v146, v147 op_sel:[0,0,1]           // 0000000223B0: D2A24090 00032792
	v_cvt_pk_fp8_f32 v145, v148, v149                          // 0000000223B8: D2A20091 00032B94
	v_cvt_pk_fp8_f32 v145, v150, v151 op_sel:[0,0,1]           // 0000000223C0: D2A24091 00032F96
	v_cvt_pk_fp8_f32 v146, v152, v153                          // 0000000223C8: D2A20092 00033398
	v_cvt_pk_fp8_f32 v146, v154, v155 op_sel:[0,0,1]           // 0000000223D0: D2A24092 0003379A
	v_cvt_pk_fp8_f32 v147, v156, v157                          // 0000000223D8: D2A20093 00033B9C
	v_cvt_pk_fp8_f32 v147, v158, v159 op_sel:[0,0,1]           // 0000000223E0: D2A24093 00033F9E
	ds_write_b32 v10, v144 offset:33280                        // 0000000223E8: D81A8200 0000900A
	ds_write_b32 v10, v145 offset:34304                        // 0000000223F0: D81A8600 0000910A
	ds_write_b32 v10, v146 offset:35328                        // 0000000223F8: D81A8A00 0000920A
	ds_write_b32 v10, v147 offset:36352                        // 000000022400: D81A8E00 0000930A
	v_add_f32_e32 v224, v224, v192                             // 000000022408: 03C181E0
	v_add_f32_e32 v225, v225, v193                             // 00000002240C: 03C383E1
	v_add_f32_e32 v226, v226, v194                             // 000000022410: 03C585E2
	v_add_f32_e32 v227, v227, v195                             // 000000022414: 03C787E3
	v_add_f32_e32 v228, v228, v196                             // 000000022418: 03C989E4
	v_add_f32_e32 v229, v229, v197                             // 00000002241C: 03CB8BE5
	v_add_f32_e32 v230, v230, v198                             // 000000022420: 03CD8DE6
	v_add_f32_e32 v231, v231, v199                             // 000000022424: 03CF8FE7
	v_rcp_f32_e32 v46, v48                                     // 000000022428: 7E5C4530
	s_waitcnt lgkmcnt(0)                                       // 00000002242C: BF8CC07F
	s_barrier                                                  // 000000022430: BF8A0000
	ds_read_b64 v[144:145], v9 offset:33280                    // 000000022434: D8EC8200 90000009
	ds_read_b64 v[146:147], v9 offset:33408                    // 00000002243C: D8EC8280 92000009
	ds_read_b64 v[148:149], v9 offset:34304                    // 000000022444: D8EC8600 94000009
	ds_read_b64 v[150:151], v9 offset:34432                    // 00000002244C: D8EC8680 96000009
	ds_read_b64 v[152:153], v9 offset:35328                    // 000000022454: D8EC8A00 98000009
	ds_read_b64 v[154:155], v9 offset:35456                    // 00000002245C: D8EC8A80 9A000009
	ds_read_b64 v[156:157], v9 offset:36352                    // 000000022464: D8EC8E00 9C000009
	ds_read_b64 v[158:159], v9 offset:36480                    // 00000002246C: D8EC8E80 9E000009
	v_mov_b32_dpp v64, v43 row_shr:4 row_mask:0xf bank_mask:0xf// 000000022474: 7E8002FA FF01142B
	v_mov_b32_dpp v65, v43 row_shl:4 row_mask:0xf bank_mask:0xf// 00000002247C: 7E8202FA FF01042B
	v_cndmask_b32_e64 v248, v43, v64, s[44:45]                 // 000000022484: D10000F8 00B2812B
	v_cndmask_b32_e64 v249, v65, v43, s[44:45]                 // 00000002248C: D10000F9 00B25741
	v_mov_b32_dpp v64, v248 row_shr:8 row_mask:0xf bank_mask:0xf// 000000022494: 7E8002FA FF0118F8
	v_mov_b32_dpp v65, v248 row_shl:8 row_mask:0xf bank_mask:0xf// 00000002249C: 7E8202FA FF0108F8
	v_mov_b32_dpp v66, v249 row_shr:8 row_mask:0xf bank_mask:0xf// 0000000224A4: 7E8402FA FF0118F9
	v_mov_b32_dpp v67, v249 row_shl:8 row_mask:0xf bank_mask:0xf// 0000000224AC: 7E8602FA FF0108F9
	v_mov_b32_e32 v68, v248                                    // 0000000224B4: 7E8803F8
	v_mov_b32_e32 v69, v249                                    // 0000000224B8: 7E8A03F9
	v_cndmask_b32_e64 v248, v68, v64, s[42:43]                 // 0000000224BC: D10000F8 00AA8144
	v_cndmask_b32_e64 v250, v68, v65, s[78:79]                 // 0000000224C4: D10000FA 013A8344
	v_cndmask_b32_e64 v249, v69, v66, s[42:43]                 // 0000000224CC: D10000F9 00AA8545
	v_cndmask_b32_e64 v251, v69, v67, s[78:79]                 // 0000000224D4: D10000FB 013A8745
	v_mov_b32_dpp v64, v58 row_shr:4 row_mask:0xf bank_mask:0xf// 0000000224DC: 7E8002FA FF01143A
	v_mov_b32_dpp v65, v58 row_shl:4 row_mask:0xf bank_mask:0xf// 0000000224E4: 7E8202FA FF01043A
	v_cndmask_b32_e64 v252, v58, v64, s[44:45]                 // 0000000224EC: D10000FC 00B2813A
	v_cndmask_b32_e64 v253, v65, v58, s[44:45]                 // 0000000224F4: D10000FD 00B27541
	v_mov_b32_dpp v64, v252 row_shr:8 row_mask:0xf bank_mask:0xf// 0000000224FC: 7E8002FA FF0118FC
	v_mov_b32_dpp v65, v252 row_shl:8 row_mask:0xf bank_mask:0xf// 000000022504: 7E8202FA FF0108FC
	v_mov_b32_dpp v66, v253 row_shr:8 row_mask:0xf bank_mask:0xf// 00000002250C: 7E8402FA FF0118FD
	v_mov_b32_dpp v67, v253 row_shl:8 row_mask:0xf bank_mask:0xf// 000000022514: 7E8602FA FF0108FD
	v_mov_b32_e32 v68, v252                                    // 00000002251C: 7E8803FC
	v_mov_b32_e32 v69, v253                                    // 000000022520: 7E8A03FD
	v_cndmask_b32_e64 v252, v68, v64, s[42:43]                 // 000000022524: D10000FC 00AA8144
	v_cndmask_b32_e64 v254, v68, v65, s[78:79]                 // 00000002252C: D10000FE 013A8344
	v_cndmask_b32_e64 v253, v69, v66, s[42:43]                 // 000000022534: D10000FD 00AA8545
	v_cndmask_b32_e64 v255, v69, v67, s[78:79]                 // 00000002253C: D10000FF 013A8745
	v_mul_f32_e32 v160, v21, v160                              // 000000022544: 0B414115
	v_mul_f32_e32 v161, v21, v161                              // 000000022548: 0B434315
	v_mul_f32_e32 v162, v21, v162                              // 00000002254C: 0B454515
	v_mul_f32_e32 v163, v21, v163                              // 000000022550: 0B474715
	v_mul_f32_e32 v164, v21, v164                              // 000000022554: 0B494915
	v_mul_f32_e32 v165, v21, v165                              // 000000022558: 0B4B4B15
	v_mul_f32_e32 v166, v21, v166                              // 00000002255C: 0B4D4D15
	v_mul_f32_e32 v167, v21, v167                              // 000000022560: 0B4F4F15
	v_mul_f32_e32 v168, v21, v168                              // 000000022564: 0B515115
	v_mul_f32_e32 v169, v21, v169                              // 000000022568: 0B535315
	v_mul_f32_e32 v170, v21, v170                              // 00000002256C: 0B555515
	v_mul_f32_e32 v171, v21, v171                              // 000000022570: 0B575715
	v_mul_f32_e32 v172, v21, v172                              // 000000022574: 0B595915
	v_mul_f32_e32 v173, v21, v173                              // 000000022578: 0B5B5B15
	v_mul_f32_e32 v174, v21, v174                              // 00000002257C: 0B5D5D15
	v_mul_f32_e32 v175, v21, v175                              // 000000022580: 0B5F5F15
	v_mul_f32_dpp v160, v248, v160 quad_perm:[0,0,0,0] row_mask:0xf bank_mask:0xf// 000000022584: 0B4140FA FF0000F8
	v_mul_f32_dpp v161, v248, v161 quad_perm:[1,1,1,1] row_mask:0xf bank_mask:0xf// 00000002258C: 0B4342FA FF0055F8
	v_mul_f32_dpp v162, v248, v162 quad_perm:[2,2,2,2] row_mask:0xf bank_mask:0xf// 000000022594: 0B4544FA FF00AAF8
	v_mul_f32_dpp v163, v248, v163 quad_perm:[3,3,3,3] row_mask:0xf bank_mask:0xf// 00000002259C: 0B4746FA FF00FFF8
	v_mul_f32_dpp v164, v249, v164 quad_perm:[0,0,0,0] row_mask:0xf bank_mask:0xf// 0000000225A4: 0B4948FA FF0000F9
	v_mul_f32_dpp v165, v249, v165 quad_perm:[1,1,1,1] row_mask:0xf bank_mask:0xf// 0000000225AC: 0B4B4AFA FF0055F9
	v_mul_f32_dpp v166, v249, v166 quad_perm:[2,2,2,2] row_mask:0xf bank_mask:0xf// 0000000225B4: 0B4D4CFA FF00AAF9
	v_mul_f32_dpp v167, v249, v167 quad_perm:[3,3,3,3] row_mask:0xf bank_mask:0xf// 0000000225BC: 0B4F4EFA FF00FFF9
	v_mul_f32_dpp v168, v250, v168 quad_perm:[0,0,0,0] row_mask:0xf bank_mask:0xf// 0000000225C4: 0B5150FA FF0000FA
	v_mul_f32_dpp v169, v250, v169 quad_perm:[1,1,1,1] row_mask:0xf bank_mask:0xf// 0000000225CC: 0B5352FA FF0055FA
	v_mul_f32_dpp v170, v250, v170 quad_perm:[2,2,2,2] row_mask:0xf bank_mask:0xf// 0000000225D4: 0B5554FA FF00AAFA
	v_mul_f32_dpp v171, v250, v171 quad_perm:[3,3,3,3] row_mask:0xf bank_mask:0xf// 0000000225DC: 0B5756FA FF00FFFA
	v_mul_f32_dpp v172, v251, v172 quad_perm:[0,0,0,0] row_mask:0xf bank_mask:0xf// 0000000225E4: 0B5958FA FF0000FB
	v_mul_f32_dpp v173, v251, v173 quad_perm:[1,1,1,1] row_mask:0xf bank_mask:0xf// 0000000225EC: 0B5B5AFA FF0055FB
	v_mul_f32_dpp v174, v251, v174 quad_perm:[2,2,2,2] row_mask:0xf bank_mask:0xf// 0000000225F4: 0B5D5CFA FF00AAFB
	v_mul_f32_dpp v175, v251, v175 quad_perm:[3,3,3,3] row_mask:0xf bank_mask:0xf// 0000000225FC: 0B5F5EFA FF00FFFB
	s_cmp_le_i32 s90, s89                                      // 000000022604: BF05595A
	s_cbranch_scc1 label_8174                                  // 000000022608: BF850071
	v_mov_b32_e32 v66, 0xff800000                              // 00000002260C: 7E8402FF FF800000
	s_mov_b32 s60, s90                                         // 000000022614: BEBC005A
	s_add_u32 s61, s89, 0xff                                   // 000000022618: 803DFF59 000000FF
	v_mov_b32_e32 v64, s61                                     // 000000022620: 7E80023D
	v_lshrrev_b32_e32 v240, 4, v0                              // 000000022624: 21E00084
	v_mul_i32_i24_e32 v240, 4, v240                            // 000000022628: 0DE1E084
	v_add_u32_e32 v240, s60, v240                              // 00000002262C: 69E1E03C
	s_mov_b32 s61, 3                                           // 000000022630: BEBD0083
	s_mul_i32 s60, 16, s7                                      // 000000022634: 923C0790
	v_sub_u32_e64 v240, v240, s61                              // 000000022638: D13500F0 00007BF0
	v_add_u32_e32 v240, s60, v240                              // 000000022640: 69E1E03C
	v_add_u32_e32 v241, 1, v240                                // 000000022644: 69E3E081
	v_add_u32_e32 v242, 2, v240                                // 000000022648: 69E5E082
	v_add_u32_e32 v243, 3, v240                                // 00000002264C: 69E7E083
	v_cmp_le_u32_e64 s[40:41], v240, v64                       // 000000022650: D0CB0028 000281F0
	v_add_u32_e32 v240, 64, v240                               // 000000022658: 69E1E0C0
	s_nop 0                                                    // 00000002265C: BF800000
	v_cndmask_b32_e64 v160, v66, v160, s[40:41]                // 000000022660: D10000A0 00A34142
	v_cmp_le_u32_e64 s[40:41], v241, v64                       // 000000022668: D0CB0028 000281F1
	v_add_u32_e32 v241, 64, v241                               // 000000022670: 69E3E2C0
	s_nop 0                                                    // 000000022674: BF800000
	v_cndmask_b32_e64 v161, v66, v161, s[40:41]                // 000000022678: D10000A1 00A34342
	v_cmp_le_u32_e64 s[40:41], v242, v64                       // 000000022680: D0CB0028 000281F2
	v_add_u32_e32 v242, 64, v242                               // 000000022688: 69E5E4C0
	s_nop 0                                                    // 00000002268C: BF800000
	v_cndmask_b32_e64 v162, v66, v162, s[40:41]                // 000000022690: D10000A2 00A34542
	v_cmp_le_u32_e64 s[40:41], v243, v64                       // 000000022698: D0CB0028 000281F3
	v_add_u32_e32 v243, 64, v243                               // 0000000226A0: 69E7E6C0
	s_nop 0                                                    // 0000000226A4: BF800000
	v_cndmask_b32_e64 v163, v66, v163, s[40:41]                // 0000000226A8: D10000A3 00A34742
	v_cmp_le_u32_e64 s[40:41], v240, v64                       // 0000000226B0: D0CB0028 000281F0
	v_add_u32_e32 v240, 64, v240                               // 0000000226B8: 69E1E0C0
	s_nop 0                                                    // 0000000226BC: BF800000
	v_cndmask_b32_e64 v164, v66, v164, s[40:41]                // 0000000226C0: D10000A4 00A34942
	v_cmp_le_u32_e64 s[40:41], v241, v64                       // 0000000226C8: D0CB0028 000281F1
	v_add_u32_e32 v241, 64, v241                               // 0000000226D0: 69E3E2C0
	s_nop 0                                                    // 0000000226D4: BF800000
	v_cndmask_b32_e64 v165, v66, v165, s[40:41]                // 0000000226D8: D10000A5 00A34B42
	v_cmp_le_u32_e64 s[40:41], v242, v64                       // 0000000226E0: D0CB0028 000281F2
	v_add_u32_e32 v242, 64, v242                               // 0000000226E8: 69E5E4C0
	s_nop 0                                                    // 0000000226EC: BF800000
	v_cndmask_b32_e64 v166, v66, v166, s[40:41]                // 0000000226F0: D10000A6 00A34D42
	v_cmp_le_u32_e64 s[40:41], v243, v64                       // 0000000226F8: D0CB0028 000281F3
	v_add_u32_e32 v243, 64, v243                               // 000000022700: 69E7E6C0
	s_nop 0                                                    // 000000022704: BF800000
	v_cndmask_b32_e64 v167, v66, v167, s[40:41]                // 000000022708: D10000A7 00A34F42
	v_cmp_le_u32_e64 s[40:41], v240, v64                       // 000000022710: D0CB0028 000281F0
	v_add_u32_e32 v240, 64, v240                               // 000000022718: 69E1E0C0
	s_nop 0                                                    // 00000002271C: BF800000
	v_cndmask_b32_e64 v168, v66, v168, s[40:41]                // 000000022720: D10000A8 00A35142
	v_cmp_le_u32_e64 s[40:41], v241, v64                       // 000000022728: D0CB0028 000281F1
	v_add_u32_e32 v241, 64, v241                               // 000000022730: 69E3E2C0
	s_nop 0                                                    // 000000022734: BF800000
	v_cndmask_b32_e64 v169, v66, v169, s[40:41]                // 000000022738: D10000A9 00A35342
	v_cmp_le_u32_e64 s[40:41], v242, v64                       // 000000022740: D0CB0028 000281F2
	v_add_u32_e32 v242, 64, v242                               // 000000022748: 69E5E4C0
	s_nop 0                                                    // 00000002274C: BF800000
	v_cndmask_b32_e64 v170, v66, v170, s[40:41]                // 000000022750: D10000AA 00A35542
	v_cmp_le_u32_e64 s[40:41], v243, v64                       // 000000022758: D0CB0028 000281F3
	v_add_u32_e32 v243, 64, v243                               // 000000022760: 69E7E6C0
	s_nop 0                                                    // 000000022764: BF800000
	v_cndmask_b32_e64 v171, v66, v171, s[40:41]                // 000000022768: D10000AB 00A35742
	v_cmp_le_u32_e64 s[40:41], v240, v64                       // 000000022770: D0CB0028 000281F0
	v_add_u32_e32 v240, 64, v240                               // 000000022778: 69E1E0C0
	s_nop 0                                                    // 00000002277C: BF800000
	v_cndmask_b32_e64 v172, v66, v172, s[40:41]                // 000000022780: D10000AC 00A35942
	v_cmp_le_u32_e64 s[40:41], v241, v64                       // 000000022788: D0CB0028 000281F1
	v_add_u32_e32 v241, 64, v241                               // 000000022790: 69E3E2C0
	s_nop 0                                                    // 000000022794: BF800000
	v_cndmask_b32_e64 v173, v66, v173, s[40:41]                // 000000022798: D10000AD 00A35B42
	v_cmp_le_u32_e64 s[40:41], v242, v64                       // 0000000227A0: D0CB0028 000281F2
	v_add_u32_e32 v242, 64, v242                               // 0000000227A8: 69E5E4C0
	s_nop 0                                                    // 0000000227AC: BF800000
	v_cndmask_b32_e64 v174, v66, v174, s[40:41]                // 0000000227B0: D10000AE 00A35D42
	v_cmp_le_u32_e64 s[40:41], v243, v64                       // 0000000227B8: D0CB0028 000281F3
	v_add_u32_e32 v243, 64, v243                               // 0000000227C0: 69E7E6C0
	s_nop 0                                                    // 0000000227C4: BF800000
	v_cndmask_b32_e64 v175, v66, v175, s[40:41]                // 0000000227C8: D10000AF 00A35F42

00000000000227d0 <label_8174>:
	s_add_u32 s90, s91, s90                                    // 0000000227D0: 805A5A5B
	v_mov_b32_e32 v48, v160                                    // 0000000227D4: 7E6003A0
	v_max3_f32 v48, v160, v161, v48                            // 0000000227D8: D1D30030 04C343A0
	v_max3_f32 v48, v162, v163, v48                            // 0000000227E0: D1D30030 04C347A2
	v_max3_f32 v48, v164, v165, v48                            // 0000000227E8: D1D30030 04C34BA4
	v_max3_f32 v48, v166, v167, v48                            // 0000000227F0: D1D30030 04C34FA6
	v_max3_f32 v48, v168, v169, v48                            // 0000000227F8: D1D30030 04C353A8
	v_max3_f32 v48, v170, v171, v48                            // 000000022800: D1D30030 04C357AA
	v_max3_f32 v48, v172, v173, v48                            // 000000022808: D1D30030 04C35BAC
	v_max3_f32 v48, v174, v175, v48                            // 000000022810: D1D30030 04C35FAE
	ds_write_b32 v8, v48 offset:16896                          // 000000022818: D81A4200 00003008
	v_mul_f32_e32 v232, v52, v232                              // 000000022820: 0BD1D134
	v_mul_f32_e32 v233, v52, v233                              // 000000022824: 0BD3D334
	v_mul_f32_e32 v234, v52, v234                              // 000000022828: 0BD5D534
	v_mul_f32_e32 v235, v52, v235                              // 00000002282C: 0BD7D734
	v_mul_f32_e32 v236, v52, v236                              // 000000022830: 0BD9D934
	v_mul_f32_e32 v237, v52, v237                              // 000000022834: 0BDBDB34
	v_mul_f32_e32 v238, v52, v238                              // 000000022838: 0BDDDD34
	v_mul_f32_e32 v239, v52, v239                              // 00000002283C: 0BDFDF34
	s_waitcnt lgkmcnt(0)                                       // 000000022840: BF8CC07F
	s_barrier                                                  // 000000022844: BF8A0000
	ds_read_b32 v64, v7 offset:16896                           // 000000022848: D86C4200 40000007
	ds_read_b32 v65, v7 offset:16960                           // 000000022850: D86C4240 41000007
	ds_read_b32 v66, v7 offset:17024                           // 000000022858: D86C4280 42000007
	ds_read_b32 v67, v7 offset:17088                           // 000000022860: D86C42C0 43000007
	ds_read_b32 v68, v7 offset:17152                           // 000000022868: D86C4300 44000007
	ds_read_b32 v69, v7 offset:17216                           // 000000022870: D86C4340 45000007
	ds_read_b32 v70, v7 offset:17280                           // 000000022878: D86C4380 46000007
	ds_read_b32 v71, v7 offset:17344                           // 000000022880: D86C43C0 47000007
	ds_read_b32 v72, v7 offset:17408                           // 000000022888: D86C4400 48000007
	ds_read_b32 v73, v7 offset:17472                           // 000000022890: D86C4440 49000007
	ds_read_b32 v74, v7 offset:17536                           // 000000022898: D86C4480 4A000007
	ds_read_b32 v75, v7 offset:17600                           // 0000000228A0: D86C44C0 4B000007
	ds_read_b32 v76, v7 offset:17664                           // 0000000228A8: D86C4500 4C000007
	ds_read_b32 v77, v7 offset:17728                           // 0000000228B0: D86C4540 4D000007
	ds_read_b32 v78, v7 offset:17792                           // 0000000228B8: D86C4580 4E000007
	ds_read_b32 v79, v7 offset:17856                           // 0000000228C0: D86C45C0 4F000007
	v_mul_f32_e32 v200, v47, v200                              // 0000000228C8: 0B91912F
	v_mul_f32_e32 v201, v47, v201                              // 0000000228CC: 0B93932F
	v_mul_f32_e32 v202, v47, v202                              // 0000000228D0: 0B95952F
	v_mul_f32_e32 v203, v47, v203                              // 0000000228D4: 0B97972F
	v_mul_f32_e32 v204, v47, v204                              // 0000000228D8: 0B99992F
	v_mul_f32_e32 v205, v47, v205                              // 0000000228DC: 0B9B9B2F
	v_mul_f32_e32 v206, v47, v206                              // 0000000228E0: 0B9D9D2F
	v_mul_f32_e32 v207, v47, v207                              // 0000000228E4: 0B9F9F2F
	s_waitcnt lgkmcnt(0)                                       // 0000000228E8: BF8CC07F
	v_max3_f32 v48, v64, v65, v48                              // 0000000228EC: D1D30030 04C28340
	v_max3_f32 v48, v66, v67, v48                              // 0000000228F4: D1D30030 04C28742
	v_max3_f32 v48, v68, v69, v48                              // 0000000228FC: D1D30030 04C28B44
	v_max3_f32 v48, v70, v71, v48                              // 000000022904: D1D30030 04C28F46
	v_max3_f32 v48, v72, v73, v48                              // 00000002290C: D1D30030 04C29348
	v_max3_f32 v48, v74, v75, v48                              // 000000022914: D1D30030 04C2974A
	v_max3_f32 v48, v76, v77, v48                              // 00000002291C: D1D30030 04C29B4C
	v_max3_f32 v48, v78, v79, v48                              // 000000022924: D1D30030 04C29F4E
	v_mov_b32_e32 v64, 0xff800000                              // 00000002292C: 7E8002FF FF800000
	v_cmp_eq_u32_e64 s[40:41], v64, v14                        // 000000022934: D0CA0028 00021D40
	s_nop 1                                                    // 00000002293C: BF800001
	v_max_f32_e32 v15, v48, v14                                // 000000022940: 161E1D30
	v_mul_f32_e32 v53, s64, v15                                // 000000022944: 0A6A1E40
	v_fma_f32 v160, v160, s64, -v53                            // 000000022948: D1CB00A0 84D481A0
	v_fma_f32 v161, v161, s64, -v53                            // 000000022950: D1CB00A1 84D481A1
	v_fma_f32 v162, v162, s64, -v53                            // 000000022958: D1CB00A2 84D481A2
	v_fma_f32 v163, v163, s64, -v53                            // 000000022960: D1CB00A3 84D481A3
	v_fma_f32 v164, v164, s64, -v53                            // 000000022968: D1CB00A4 84D481A4
	v_fma_f32 v165, v165, s64, -v53                            // 000000022970: D1CB00A5 84D481A5
	v_fma_f32 v166, v166, s64, -v53                            // 000000022978: D1CB00A6 84D481A6
	v_fma_f32 v167, v167, s64, -v53                            // 000000022980: D1CB00A7 84D481A7
	v_fma_f32 v168, v168, s64, -v53                            // 000000022988: D1CB00A8 84D481A8
	v_fma_f32 v169, v169, s64, -v53                            // 000000022990: D1CB00A9 84D481A9
	v_fma_f32 v170, v170, s64, -v53                            // 000000022998: D1CB00AA 84D481AA
	v_fma_f32 v171, v171, s64, -v53                            // 0000000229A0: D1CB00AB 84D481AB
	v_fma_f32 v172, v172, s64, -v53                            // 0000000229A8: D1CB00AC 84D481AC
	v_fma_f32 v173, v173, s64, -v53                            // 0000000229B0: D1CB00AD 84D481AD
	v_fma_f32 v174, v174, s64, -v53                            // 0000000229B8: D1CB00AE 84D481AE
	v_fma_f32 v175, v175, s64, -v53                            // 0000000229C0: D1CB00AF 84D481AF
	v_exp_f32_e32 v160, v160                                   // 0000000229C8: 7F4041A0
	v_exp_f32_e32 v161, v161                                   // 0000000229CC: 7F4241A1
	v_exp_f32_e32 v162, v162                                   // 0000000229D0: 7F4441A2
	v_exp_f32_e32 v163, v163                                   // 0000000229D4: 7F4641A3
	v_exp_f32_e32 v164, v164                                   // 0000000229D8: 7F4841A4
	v_exp_f32_e32 v165, v165                                   // 0000000229DC: 7F4A41A5
	v_exp_f32_e32 v166, v166                                   // 0000000229E0: 7F4C41A6
	v_exp_f32_e32 v167, v167                                   // 0000000229E4: 7F4E41A7
	v_exp_f32_e32 v168, v168                                   // 0000000229E8: 7F5041A8
	v_exp_f32_e32 v169, v169                                   // 0000000229EC: 7F5241A9
	v_exp_f32_e32 v170, v170                                   // 0000000229F0: 7F5441AA
	v_exp_f32_e32 v171, v171                                   // 0000000229F4: 7F5641AB
	v_exp_f32_e32 v172, v172                                   // 0000000229F8: 7F5841AC
	v_exp_f32_e32 v173, v173                                   // 0000000229FC: 7F5A41AD
	v_exp_f32_e32 v174, v174                                   // 000000022A00: 7F5C41AE
	v_exp_f32_e32 v175, v175                                   // 000000022A04: 7F5E41AF
	v_mul_f32_dpp v240, v252, v160 quad_perm:[0,0,0,0] row_mask:0xf bank_mask:0xf// 000000022A08: 0BE140FA FF0000FC
	v_mul_f32_dpp v241, v252, v161 quad_perm:[1,1,1,1] row_mask:0xf bank_mask:0xf// 000000022A10: 0BE342FA FF0055FC
	v_mul_f32_dpp v242, v252, v162 quad_perm:[2,2,2,2] row_mask:0xf bank_mask:0xf// 000000022A18: 0BE544FA FF00AAFC
	v_mul_f32_dpp v243, v252, v163 quad_perm:[3,3,3,3] row_mask:0xf bank_mask:0xf// 000000022A20: 0BE746FA FF00FFFC
	v_mul_f32_dpp v244, v253, v164 quad_perm:[0,0,0,0] row_mask:0xf bank_mask:0xf// 000000022A28: 0BE948FA FF0000FD
	v_mul_f32_dpp v245, v253, v165 quad_perm:[1,1,1,1] row_mask:0xf bank_mask:0xf// 000000022A30: 0BEB4AFA FF0055FD
	v_mul_f32_dpp v246, v253, v166 quad_perm:[2,2,2,2] row_mask:0xf bank_mask:0xf// 000000022A38: 0BED4CFA FF00AAFD
	v_mul_f32_dpp v247, v253, v167 quad_perm:[3,3,3,3] row_mask:0xf bank_mask:0xf// 000000022A40: 0BEF4EFA FF00FFFD
	v_mul_f32_dpp v248, v254, v168 quad_perm:[0,0,0,0] row_mask:0xf bank_mask:0xf// 000000022A48: 0BF150FA FF0000FE
	v_mul_f32_dpp v249, v254, v169 quad_perm:[1,1,1,1] row_mask:0xf bank_mask:0xf// 000000022A50: 0BF352FA FF0055FE
	v_mul_f32_dpp v250, v254, v170 quad_perm:[2,2,2,2] row_mask:0xf bank_mask:0xf// 000000022A58: 0BF554FA FF00AAFE
	v_mul_f32_dpp v251, v254, v171 quad_perm:[3,3,3,3] row_mask:0xf bank_mask:0xf// 000000022A60: 0BF756FA FF00FFFE
	v_mul_f32_dpp v252, v255, v172 quad_perm:[0,0,0,0] row_mask:0xf bank_mask:0xf// 000000022A68: 0BF958FA FF0000FF
	v_mul_f32_dpp v253, v255, v173 quad_perm:[1,1,1,1] row_mask:0xf bank_mask:0xf// 000000022A70: 0BFB5AFA FF0055FF
	v_mul_f32_dpp v254, v255, v174 quad_perm:[2,2,2,2] row_mask:0xf bank_mask:0xf// 000000022A78: 0BFD5CFA FF00AAFF
	v_mul_f32_dpp v255, v255, v175 quad_perm:[3,3,3,3] row_mask:0xf bank_mask:0xf// 000000022A80: 0BFF5EFA FF00FFFF
	v_mov_b32_e32 v48, 0x358637bd                              // 000000022A88: 7E6002FF 358637BD
	v_max3_f32 v48, |v240|, |v241|, v48                        // 000000022A90: D1D30330 04C3E3F0
	v_max3_f32 v48, |v242|, |v243|, v48                        // 000000022A98: D1D30330 04C3E7F2
	v_max3_f32 v48, |v244|, |v245|, v48                        // 000000022AA0: D1D30330 04C3EBF4
	v_max3_f32 v48, |v246|, |v247|, v48                        // 000000022AA8: D1D30330 04C3EFF6
	v_max3_f32 v48, |v248|, |v249|, v48                        // 000000022AB0: D1D30330 04C3F3F8
	v_max3_f32 v48, |v250|, |v251|, v48                        // 000000022AB8: D1D30330 04C3F7FA
	v_max3_f32 v48, |v252|, |v253|, v48                        // 000000022AC0: D1D30330 04C3FBFC
	v_max3_f32 v48, |v254|, |v255|, v48                        // 000000022AC8: D1D30330 04C3FFFE
	ds_write_b32 v8, v48 offset:20992                          // 000000022AD0: D81A5200 00003008
	v_sub_f32_e32 v52, v14, v15                                // 000000022AD8: 04681F0E
	v_cndmask_b32_e64 v52, v52, 0, s[40:41]                    // 000000022ADC: D1000034 00A10134
	v_mov_b32_e32 v14, v15                                     // 000000022AE4: 7E1C030F
	v_mul_f32_e32 v52, s64, v52                                // 000000022AE8: 0A686840
	v_exp_f32_e32 v52, v52                                     // 000000022AEC: 7E684134
	s_waitcnt lgkmcnt(0)                                       // 000000022AF0: BF8CC07F
	s_barrier                                                  // 000000022AF4: BF8A0000
	ds_read_b32 v64, v7 offset:20992                           // 000000022AF8: D86C5200 40000007
	ds_read_b32 v65, v7 offset:21056                           // 000000022B00: D86C5240 41000007
	ds_read_b32 v66, v7 offset:21120                           // 000000022B08: D86C5280 42000007
	ds_read_b32 v67, v7 offset:21184                           // 000000022B10: D86C52C0 43000007
	ds_read_b32 v68, v7 offset:21248                           // 000000022B18: D86C5300 44000007
	ds_read_b32 v69, v7 offset:21312                           // 000000022B20: D86C5340 45000007
	ds_read_b32 v70, v7 offset:21376                           // 000000022B28: D86C5380 46000007
	ds_read_b32 v71, v7 offset:21440                           // 000000022B30: D86C53C0 47000007
	ds_read_b32 v72, v7 offset:21504                           // 000000022B38: D86C5400 48000007
	ds_read_b32 v73, v7 offset:21568                           // 000000022B40: D86C5440 49000007
	ds_read_b32 v74, v7 offset:21632                           // 000000022B48: D86C5480 4A000007
	ds_read_b32 v75, v7 offset:21696                           // 000000022B50: D86C54C0 4B000007
	ds_read_b32 v76, v7 offset:21760                           // 000000022B58: D86C5500 4C000007
	ds_read_b32 v77, v7 offset:21824                           // 000000022B60: D86C5540 4D000007
	ds_read_b32 v78, v7 offset:21888                           // 000000022B68: D86C5580 4E000007
	ds_read_b32 v79, v7 offset:21952                           // 000000022B70: D86C55C0 4F000007
	v_mul_f32_e32 v41, v52, v41                                // 000000022B78: 0A525334
	v_mov_b32_e32 v15, v160                                    // 000000022B7C: 7E1E03A0
	v_add_f32_e32 v15, v161, v15                               // 000000022B80: 021E1FA1
	v_add_f32_e32 v15, v162, v15                               // 000000022B84: 021E1FA2
	v_add_f32_e32 v15, v163, v15                               // 000000022B88: 021E1FA3
	v_add_f32_e32 v15, v164, v15                               // 000000022B8C: 021E1FA4
	v_add_f32_e32 v15, v165, v15                               // 000000022B90: 021E1FA5
	v_add_f32_e32 v15, v166, v15                               // 000000022B94: 021E1FA6
	v_add_f32_e32 v15, v167, v15                               // 000000022B98: 021E1FA7
	v_add_f32_e32 v15, v168, v15                               // 000000022B9C: 021E1FA8
	v_add_f32_e32 v15, v169, v15                               // 000000022BA0: 021E1FA9
	v_add_f32_e32 v15, v170, v15                               // 000000022BA4: 021E1FAA
	v_add_f32_e32 v15, v171, v15                               // 000000022BA8: 021E1FAB
	v_add_f32_e32 v15, v172, v15                               // 000000022BAC: 021E1FAC
	v_add_f32_e32 v15, v173, v15                               // 000000022BB0: 021E1FAD
	v_add_f32_e32 v15, v174, v15                               // 000000022BB4: 021E1FAE
	v_add_f32_e32 v15, v175, v15                               // 000000022BB8: 021E1FAF
	v_add_f32_e32 v41, v15, v41                                // 000000022BBC: 0252530F
	s_waitcnt lgkmcnt(0)                                       // 000000022BC0: BF8CC07F
	v_max3_f32 v48, |v64|, |v65|, v48                          // 000000022BC4: D1D30330 04C28340
	v_max3_f32 v48, |v66|, |v67|, v48                          // 000000022BCC: D1D30330 04C28742
	v_max3_f32 v48, |v68|, |v69|, v48                          // 000000022BD4: D1D30330 04C28B44
	v_max3_f32 v48, |v70|, |v71|, v48                          // 000000022BDC: D1D30330 04C28F46
	v_max3_f32 v48, |v72|, |v73|, v48                          // 000000022BE4: D1D30330 04C29348
	v_max3_f32 v48, |v74|, |v75|, v48                          // 000000022BEC: D1D30330 04C2974A
	v_max3_f32 v48, |v76|, |v77|, v48                          // 000000022BF4: D1D30330 04C29B4C
	v_max3_f32 v48, |v78|, |v79|, v48                          // 000000022BFC: D1D30330 04C29F4E
	s_nop 2                                                    // 000000022C04: BF800002
	v_rcp_f32_e32 v48, v48                                     // 000000022C08: 7E604530
	s_nop 1                                                    // 000000022C0C: BF800001
	v_mul_f32_e32 v48, 0x43e00000, v48                         // 000000022C10: 0A6060FF 43E00000
	v_mul_f32_e32 v160, v48, v240                              // 000000022C18: 0B41E130
	v_mul_f32_e32 v161, v48, v241                              // 000000022C1C: 0B43E330
	v_mul_f32_e32 v162, v48, v242                              // 000000022C20: 0B45E530
	v_mul_f32_e32 v163, v48, v243                              // 000000022C24: 0B47E730
	v_mul_f32_e32 v164, v48, v244                              // 000000022C28: 0B49E930
	v_mul_f32_e32 v165, v48, v245                              // 000000022C2C: 0B4BEB30
	v_mul_f32_e32 v166, v48, v246                              // 000000022C30: 0B4DED30
	v_mul_f32_e32 v167, v48, v247                              // 000000022C34: 0B4FEF30
	v_mul_f32_e32 v168, v48, v248                              // 000000022C38: 0B51F130
	v_mul_f32_e32 v169, v48, v249                              // 000000022C3C: 0B53F330
	v_mul_f32_e32 v170, v48, v250                              // 000000022C40: 0B55F530
	v_mul_f32_e32 v171, v48, v251                              // 000000022C44: 0B57F730
	v_mul_f32_e32 v172, v48, v252                              // 000000022C48: 0B59F930
	v_mul_f32_e32 v173, v48, v253                              // 000000022C4C: 0B5BFB30
	v_mul_f32_e32 v174, v48, v254                              // 000000022C50: 0B5DFD30
	v_mul_f32_e32 v175, v48, v255                              // 000000022C54: 0B5FFF30
	v_cvt_pk_fp8_f32 v160, v160, v161                          // 000000022C58: D2A200A0 000343A0
	v_cvt_pk_fp8_f32 v160, v162, v163 op_sel:[0,0,1]           // 000000022C60: D2A240A0 000347A2
	v_cvt_pk_fp8_f32 v161, v164, v165                          // 000000022C68: D2A200A1 00034BA4
	v_cvt_pk_fp8_f32 v161, v166, v167 op_sel:[0,0,1]           // 000000022C70: D2A240A1 00034FA6
	v_cvt_pk_fp8_f32 v162, v168, v169                          // 000000022C78: D2A200A2 000353A8
	v_cvt_pk_fp8_f32 v162, v170, v171 op_sel:[0,0,1]           // 000000022C80: D2A240A2 000357AA
	v_cvt_pk_fp8_f32 v163, v172, v173                          // 000000022C88: D2A200A3 00035BAC
	v_cvt_pk_fp8_f32 v163, v174, v175 op_sel:[0,0,1]           // 000000022C90: D2A240A3 00035FAE
	ds_write_b32 v10, v160 offset:37376                        // 000000022C98: D81A9200 0000A00A
	ds_write_b32 v10, v161 offset:38400                        // 000000022CA0: D81A9600 0000A10A
	ds_write_b32 v10, v162 offset:39424                        // 000000022CA8: D81A9A00 0000A20A
	ds_write_b32 v10, v163 offset:40448                        // 000000022CB0: D81A9E00 0000A30A
	v_add_f32_e32 v232, v232, v200                             // 000000022CB8: 03D191E8
	v_add_f32_e32 v233, v233, v201                             // 000000022CBC: 03D393E9
	v_add_f32_e32 v234, v234, v202                             // 000000022CC0: 03D595EA
	v_add_f32_e32 v235, v235, v203                             // 000000022CC4: 03D797EB
	v_add_f32_e32 v236, v236, v204                             // 000000022CC8: 03D999EC
	v_add_f32_e32 v237, v237, v205                             // 000000022CCC: 03DB9BED
	v_add_f32_e32 v238, v238, v206                             // 000000022CD0: 03DD9DEE
	v_add_f32_e32 v239, v239, v207                             // 000000022CD4: 03DF9FEF
	v_rcp_f32_e32 v47, v48                                     // 000000022CD8: 7E5E4530
	s_waitcnt lgkmcnt(0)                                       // 000000022CDC: BF8CC07F
	s_barrier                                                  // 000000022CE0: BF8A0000
	ds_read_b64 v[160:161], v9 offset:37376                    // 000000022CE4: D8EC9200 A0000009
	ds_read_b64 v[162:163], v9 offset:37504                    // 000000022CEC: D8EC9280 A2000009
	ds_read_b64 v[164:165], v9 offset:38400                    // 000000022CF4: D8EC9600 A4000009
	ds_read_b64 v[166:167], v9 offset:38528                    // 000000022CFC: D8EC9680 A6000009
	ds_read_b64 v[168:169], v9 offset:39424                    // 000000022D04: D8EC9A00 A8000009
	ds_read_b64 v[170:171], v9 offset:39552                    // 000000022D0C: D8EC9A80 AA000009
	ds_read_b64 v[172:173], v9 offset:40448                    // 000000022D14: D8EC9E00 AC000009
	ds_read_b64 v[174:175], v9 offset:40576                    // 000000022D1C: D8EC9E80 AE000009
	s_waitcnt vmcnt(15)                                        // 000000022D24: BF8C0F7F
	v_mfma_f32_16x16x32_fp8_fp8 v[176:179], a[96:97], v[112:113], 0// 000000022D28: D3F300B0 0A02E160
	v_mfma_f32_16x16x32_fp8_fp8 v[176:179], a[98:99], v[114:115], v[176:179]// 000000022D30: D3F300B0 0EC2E562
	buffer_load_dwordx4 a[80:83], v30, s[20:23], 0 offen offset:1024// 000000022D38: E05C1400 8085501E
	v_mfma_f32_16x16x32_fp8_fp8 v[176:179], a[100:101], v[116:117], v[176:179]// 000000022D40: D3F300B0 0EC2E964
	v_mfma_f32_16x16x32_fp8_fp8 v[176:179], a[102:103], v[118:119], v[176:179]// 000000022D48: D3F300B0 0EC2ED66
	v_mfma_f32_16x16x32_fp8_fp8 v[176:179], a[104:105], v[120:121], v[176:179]// 000000022D50: D3F300B0 0EC2F168
	v_mfma_f32_16x16x32_fp8_fp8 v[176:179], a[106:107], v[122:123], v[176:179]// 000000022D58: D3F300B0 0EC2F56A
	buffer_load_dwordx4 a[84:87], v31, s[20:23], 0 offen offset:1024// 000000022D60: E05C1400 8085541F
	v_mfma_f32_16x16x32_fp8_fp8 v[176:179], a[108:109], v[124:125], v[176:179]// 000000022D68: D3F300B0 0EC2F96C
	v_mfma_f32_16x16x32_fp8_fp8 v[176:179], a[110:111], v[126:127], v[176:179]// 000000022D70: D3F300B0 0EC2FD6E
	v_mfma_f32_16x16x32_fp8_fp8 v[180:183], a[112:113], v[112:113], 0// 000000022D78: D3F300B4 0A02E170
	v_mfma_f32_16x16x32_fp8_fp8 v[180:183], a[114:115], v[114:115], v[180:183]// 000000022D80: D3F300B4 0ED2E572
	buffer_load_dwordx4 a[88:91], v32, s[20:23], 0 offen offset:1024// 000000022D88: E05C1400 80855820
	v_mfma_f32_16x16x32_fp8_fp8 v[180:183], a[116:117], v[116:117], v[180:183]// 000000022D90: D3F300B4 0ED2E974
	v_mfma_f32_16x16x32_fp8_fp8 v[180:183], a[118:119], v[118:119], v[180:183]// 000000022D98: D3F300B4 0ED2ED76
	v_mfma_f32_16x16x32_fp8_fp8 v[180:183], a[120:121], v[120:121], v[180:183]// 000000022DA0: D3F300B4 0ED2F178
	v_mfma_f32_16x16x32_fp8_fp8 v[180:183], a[122:123], v[122:123], v[180:183]// 000000022DA8: D3F300B4 0ED2F57A
	buffer_load_dwordx4 a[92:95], v33, s[20:23], 0 offen offset:1024// 000000022DB0: E05C1400 80855C21
	v_mfma_f32_16x16x32_fp8_fp8 v[180:183], a[124:125], v[124:125], v[180:183]// 000000022DB8: D3F300B4 0ED2F97C
	s_lshr_b32 s57, s70, 4                                     // 000000022DC0: 8F398446
	s_add_u32 s57, 48, s57                                     // 000000022DC4: 803939B0
	v_mfma_f32_16x16x32_fp8_fp8 v[180:183], a[126:127], v[126:127], v[180:183]// 000000022DC8: D3F300B4 0ED2FD7E
	s_cmp_ge_u32 s57, s73                                      // 000000022DD0: BF094939
	s_cselect_b32 s56, 0, s56                                  // 000000022DD4: 85383880
	v_mfma_f32_16x16x32_fp8_fp8 v[184:187], a[96:97], v[128:129], 0// 000000022DD8: D3F300B8 0A030160
	v_mfma_f32_16x16x32_fp8_fp8 v[184:187], a[98:99], v[130:131], v[184:187]// 000000022DE0: D3F300B8 0EE30562
	v_mfma_f32_16x16x32_fp8_fp8 v[184:187], a[100:101], v[132:133], v[184:187]// 000000022DE8: D3F300B8 0EE30964
	v_mfma_f32_16x16x32_fp8_fp8 v[184:187], a[102:103], v[134:135], v[184:187]// 000000022DF0: D3F300B8 0EE30D66
	v_mfma_f32_16x16x32_fp8_fp8 v[184:187], a[104:105], v[136:137], v[184:187]// 000000022DF8: D3F300B8 0EE31168
	v_mfma_f32_16x16x32_fp8_fp8 v[184:187], a[106:107], v[138:139], v[184:187]// 000000022E00: D3F300B8 0EE3156A
	v_mfma_f32_16x16x32_fp8_fp8 v[184:187], a[108:109], v[140:141], v[184:187]// 000000022E08: D3F300B8 0EE3196C
	v_mfma_f32_16x16x32_fp8_fp8 v[184:187], a[110:111], v[142:143], v[184:187]// 000000022E10: D3F300B8 0EE31D6E
	v_mfma_f32_16x16x32_fp8_fp8 v[188:191], a[112:113], v[128:129], 0// 000000022E18: D3F300BC 0A030170
	v_mfma_f32_16x16x32_fp8_fp8 v[188:191], a[114:115], v[130:131], v[188:191]// 000000022E20: D3F300BC 0EF30572
	v_mfma_f32_16x16x32_fp8_fp8 v[188:191], a[116:117], v[132:133], v[188:191]// 000000022E28: D3F300BC 0EF30974
	v_mfma_f32_16x16x32_fp8_fp8 v[188:191], a[118:119], v[134:135], v[188:191]// 000000022E30: D3F300BC 0EF30D76
	v_mfma_f32_16x16x32_fp8_fp8 v[188:191], a[120:121], v[136:137], v[188:191]// 000000022E38: D3F300BC 0EF31178
	v_mfma_f32_16x16x32_fp8_fp8 v[188:191], a[122:123], v[138:139], v[188:191]// 000000022E40: D3F300BC 0EF3157A
	v_mfma_f32_16x16x32_fp8_fp8 v[188:191], a[124:125], v[140:141], v[188:191]// 000000022E48: D3F300BC 0EF3197C
	v_mfma_f32_16x16x32_fp8_fp8 v[188:191], a[126:127], v[142:143], v[188:191]// 000000022E50: D3F300BC 0EF31D7E
	v_mfma_f32_16x16x32_fp8_fp8 v[192:195], a[96:97], v[144:145], 0// 000000022E58: D3F300C0 0A032160
	v_mfma_f32_16x16x32_fp8_fp8 v[192:195], a[98:99], v[146:147], v[192:195]// 000000022E60: D3F300C0 0F032562
	v_mfma_f32_16x16x32_fp8_fp8 v[192:195], a[100:101], v[148:149], v[192:195]// 000000022E68: D3F300C0 0F032964
	v_mfma_f32_16x16x32_fp8_fp8 v[192:195], a[102:103], v[150:151], v[192:195]// 000000022E70: D3F300C0 0F032D66
	v_mfma_f32_16x16x32_fp8_fp8 v[192:195], a[104:105], v[152:153], v[192:195]// 000000022E78: D3F300C0 0F033168
	v_mfma_f32_16x16x32_fp8_fp8 v[192:195], a[106:107], v[154:155], v[192:195]// 000000022E80: D3F300C0 0F03356A
	v_mfma_f32_16x16x32_fp8_fp8 v[192:195], a[108:109], v[156:157], v[192:195]// 000000022E88: D3F300C0 0F03396C
	v_mfma_f32_16x16x32_fp8_fp8 v[192:195], a[110:111], v[158:159], v[192:195]// 000000022E90: D3F300C0 0F033D6E
	v_mfma_f32_16x16x32_fp8_fp8 v[196:199], a[112:113], v[144:145], 0// 000000022E98: D3F300C4 0A032170
	v_mfma_f32_16x16x32_fp8_fp8 v[196:199], a[114:115], v[146:147], v[196:199]// 000000022EA0: D3F300C4 0F132572
	v_mfma_f32_16x16x32_fp8_fp8 v[196:199], a[116:117], v[148:149], v[196:199]// 000000022EA8: D3F300C4 0F132974
	v_mfma_f32_16x16x32_fp8_fp8 v[196:199], a[118:119], v[150:151], v[196:199]// 000000022EB0: D3F300C4 0F132D76
	v_mfma_f32_16x16x32_fp8_fp8 v[196:199], a[120:121], v[152:153], v[196:199]// 000000022EB8: D3F300C4 0F133178
	v_mfma_f32_16x16x32_fp8_fp8 v[196:199], a[122:123], v[154:155], v[196:199]// 000000022EC0: D3F300C4 0F13357A
	v_mfma_f32_16x16x32_fp8_fp8 v[196:199], a[124:125], v[156:157], v[196:199]// 000000022EC8: D3F300C4 0F13397C
	v_mfma_f32_16x16x32_fp8_fp8 v[196:199], a[126:127], v[158:159], v[196:199]// 000000022ED0: D3F300C4 0F133D7E
	v_mfma_f32_16x16x32_fp8_fp8 v[200:203], a[96:97], v[160:161], 0// 000000022ED8: D3F300C8 0A034160
	v_mfma_f32_16x16x32_fp8_fp8 v[200:203], a[98:99], v[162:163], v[200:203]// 000000022EE0: D3F300C8 0F234562
	v_mfma_f32_16x16x32_fp8_fp8 v[200:203], a[100:101], v[164:165], v[200:203]// 000000022EE8: D3F300C8 0F234964
	v_mfma_f32_16x16x32_fp8_fp8 v[200:203], a[102:103], v[166:167], v[200:203]// 000000022EF0: D3F300C8 0F234D66
	v_mfma_f32_16x16x32_fp8_fp8 v[200:203], a[104:105], v[168:169], v[200:203]// 000000022EF8: D3F300C8 0F235168
	v_mfma_f32_16x16x32_fp8_fp8 v[200:203], a[106:107], v[170:171], v[200:203]// 000000022F00: D3F300C8 0F23556A
	v_mfma_f32_16x16x32_fp8_fp8 v[200:203], a[108:109], v[172:173], v[200:203]// 000000022F08: D3F300C8 0F23596C
	v_mfma_f32_16x16x32_fp8_fp8 v[200:203], a[110:111], v[174:175], v[200:203]// 000000022F10: D3F300C8 0F235D6E
	v_mfma_f32_16x16x32_fp8_fp8 v[204:207], a[112:113], v[160:161], 0// 000000022F18: D3F300CC 0A034170
	v_mfma_f32_16x16x32_fp8_fp8 v[204:207], a[114:115], v[162:163], v[204:207]// 000000022F20: D3F300CC 0F334572
	v_mfma_f32_16x16x32_fp8_fp8 v[204:207], a[116:117], v[164:165], v[204:207]// 000000022F28: D3F300CC 0F334974
	v_mfma_f32_16x16x32_fp8_fp8 v[204:207], a[118:119], v[166:167], v[204:207]// 000000022F30: D3F300CC 0F334D76
	v_mfma_f32_16x16x32_fp8_fp8 v[204:207], a[120:121], v[168:169], v[204:207]// 000000022F38: D3F300CC 0F335178
	v_mfma_f32_16x16x32_fp8_fp8 v[204:207], a[122:123], v[170:171], v[204:207]// 000000022F40: D3F300CC 0F33557A
	v_mfma_f32_16x16x32_fp8_fp8 v[204:207], a[124:125], v[172:173], v[204:207]// 000000022F48: D3F300CC 0F33597C
	v_mfma_f32_16x16x32_fp8_fp8 v[204:207], a[126:127], v[174:175], v[204:207]// 000000022F50: D3F300CC 0F335D7E
	v_add_u32_e32 v1, s56, v1                                  // 000000022F58: 68020238
	s_addk_i32 s70, 0x100                                      // 000000022F5C: B7460100
	s_cmp_lt_i32 s70, s71                                      // 000000022F60: BF044746
	s_cbranch_scc0 label_835B                                  // 000000022F64: BF840001
	s_branch label_6F64                                        // 000000022F68: BF82EC09

0000000000022f6c <label_835B>:
	s_nop 0                                                    // 000000022F6C: BF800000
	s_nop 0                                                    // 000000022F70: BF800000
	s_branch label_9755                                        // 000000022F74: BF8213F7

0000000000022f78 <label_835E>:
	s_waitcnt vmcnt(8) lgkmcnt(0)                              // 000000022F78: BF8C0078
	v_mul_u32_u24_dpp v64, v17, v54 row_newbcast:0 row_mask:0xf bank_mask:0xf// 000000022F7C: 10806CFA FF015011
	v_mul_u32_u24_dpp v65, v17, v54 row_newbcast:4 row_mask:0xf bank_mask:0xf// 000000022F84: 10826CFA FF015411
	v_mul_u32_u24_dpp v66, v17, v54 row_newbcast:8 row_mask:0xf bank_mask:0xf// 000000022F8C: 10846CFA FF015811
	v_mul_u32_u24_dpp v67, v17, v54 row_newbcast:12 row_mask:0xf bank_mask:0xf// 000000022F94: 10866CFA FF015C11
	v_add_u32_e32 v26, v64, v5                                 // 000000022F9C: 68340B40
	v_add_u32_e32 v27, v65, v5                                 // 000000022FA0: 68360B41
	v_add_u32_e32 v28, v66, v5                                 // 000000022FA4: 68380B42
	v_add_u32_e32 v29, v67, v5                                 // 000000022FA8: 683A0B43
	v_mul_u32_u24_dpp v64, v17, v63 quad_perm:[0,0,0,0] row_mask:0xf bank_mask:0xf// 000000022FAC: 10807EFA FF000011
	v_add_u32_e32 v3, v64, v59                                 // 000000022FB4: 68067740
	v_mul_u32_u24_dpp v64, v17, v63 quad_perm:[0,0,0,0] row_mask:0xf bank_mask:0xf// 000000022FB8: 10807EFA FF000011
	v_add_u32_e32 v56, v64, v60                                // 000000022FC0: 68707940
	v_mfma_f32_16x16x32_fp8_fp8 v[112:115], a[0:1], v[80:81], 0// 000000022FC4: D3F30070 0A02A100
	buffer_load_dwordx4 a[32:35], v26, s[16:19], 0 offen       // 000000022FCC: E05C1000 8084201A
	v_mfma_f32_16x16x32_fp8_fp8 v[112:115], a[2:3], v[82:83], v[112:115]// 000000022FD4: D3F30070 0DC2A502
	v_mfma_f32_16x16x32_fp8_fp8 v[112:115], a[4:5], v[84:85], v[112:115]// 000000022FDC: D3F30070 0DC2A904
	buffer_load_dword v16, v1, s[24:27], 0 offen               // 000000022FE4: E0501000 80061001
	v_mfma_f32_16x16x32_fp8_fp8 v[112:115], a[6:7], v[86:87], v[112:115]// 000000022FEC: D3F30070 0DC2AD06
	v_mfma_f32_16x16x32_fp8_fp8 v[116:119], a[8:9], v[80:81], 0// 000000022FF4: D3F30074 0A02A108
	buffer_load_dwordx4 a[36:39], v26, s[16:19], 0 offen offset:1024// 000000022FFC: E05C1400 8084241A
	v_mfma_f32_16x16x32_fp8_fp8 v[116:119], a[10:11], v[82:83], v[116:119]// 000000023004: D3F30074 0DD2A50A
	v_mfma_f32_16x16x32_fp8_fp8 v[116:119], a[12:13], v[84:85], v[116:119]// 00000002300C: D3F30074 0DD2A90C
	v_mfma_f32_16x16x32_fp8_fp8 v[116:119], a[14:15], v[86:87], v[116:119]// 000000023014: D3F30074 0DD2AD0E
	v_mfma_f32_16x16x32_fp8_fp8 v[120:123], a[16:17], v[80:81], 0// 00000002301C: D3F30078 0A02A110
	buffer_load_dwordx4 a[40:43], v27, s[16:19], 0 offen       // 000000023024: E05C1000 8084281B
	v_mfma_f32_16x16x32_fp8_fp8 v[120:123], a[18:19], v[82:83], v[120:123]// 00000002302C: D3F30078 0DE2A512
	v_mfma_f32_16x16x32_fp8_fp8 v[120:123], a[20:21], v[84:85], v[120:123]// 000000023034: D3F30078 0DE2A914
	v_mfma_f32_16x16x32_fp8_fp8 v[120:123], a[22:23], v[86:87], v[120:123]// 00000002303C: D3F30078 0DE2AD16
	v_mfma_f32_16x16x32_fp8_fp8 v[124:127], a[24:25], v[80:81], 0// 000000023044: D3F3007C 0A02A118
	buffer_load_dwordx4 a[44:47], v27, s[16:19], 0 offen offset:1024// 00000002304C: E05C1400 80842C1B
	v_mfma_f32_16x16x32_fp8_fp8 v[124:127], a[26:27], v[82:83], v[124:127]// 000000023054: D3F3007C 0DF2A51A
	v_mfma_f32_16x16x32_fp8_fp8 v[124:127], a[28:29], v[84:85], v[124:127]// 00000002305C: D3F3007C 0DF2A91C
	v_mfma_f32_16x16x32_fp8_fp8 v[124:127], a[30:31], v[86:87], v[124:127]// 000000023064: D3F3007C 0DF2AD1E
	v_mfma_f32_16x16x32_fp8_fp8 v[128:131], a[0:1], v[88:89], 0// 00000002306C: D3F30080 0A02B100
	v_mfma_f32_16x16x32_fp8_fp8 v[128:131], a[2:3], v[90:91], v[128:131]// 000000023074: D3F30080 0E02B502
	v_mfma_f32_16x16x32_fp8_fp8 v[128:131], a[4:5], v[92:93], v[128:131]// 00000002307C: D3F30080 0E02B904
	v_mfma_f32_16x16x32_fp8_fp8 v[128:131], a[6:7], v[94:95], v[128:131]// 000000023084: D3F30080 0E02BD06
	v_mfma_f32_16x16x32_fp8_fp8 v[132:135], a[8:9], v[88:89], 0// 00000002308C: D3F30084 0A02B108
	v_mfma_f32_16x16x32_fp8_fp8 v[132:135], a[10:11], v[90:91], v[132:135]// 000000023094: D3F30084 0E12B50A
	v_mfma_f32_16x16x32_fp8_fp8 v[132:135], a[12:13], v[92:93], v[132:135]// 00000002309C: D3F30084 0E12B90C
	v_mfma_f32_16x16x32_fp8_fp8 v[132:135], a[14:15], v[94:95], v[132:135]// 0000000230A4: D3F30084 0E12BD0E
	v_mfma_f32_16x16x32_fp8_fp8 v[136:139], a[16:17], v[88:89], 0// 0000000230AC: D3F30088 0A02B110
	v_mfma_f32_16x16x32_fp8_fp8 v[136:139], a[18:19], v[90:91], v[136:139]// 0000000230B4: D3F30088 0E22B512
	v_mfma_f32_16x16x32_fp8_fp8 v[136:139], a[20:21], v[92:93], v[136:139]// 0000000230BC: D3F30088 0E22B914
	v_mfma_f32_16x16x32_fp8_fp8 v[136:139], a[22:23], v[94:95], v[136:139]// 0000000230C4: D3F30088 0E22BD16
	v_mfma_f32_16x16x32_fp8_fp8 v[140:143], a[24:25], v[88:89], 0// 0000000230CC: D3F3008C 0A02B118
	v_mfma_f32_16x16x32_fp8_fp8 v[140:143], a[26:27], v[90:91], v[140:143]// 0000000230D4: D3F3008C 0E32B51A
	v_mfma_f32_16x16x32_fp8_fp8 v[140:143], a[28:29], v[92:93], v[140:143]// 0000000230DC: D3F3008C 0E32B91C
	v_mfma_f32_16x16x32_fp8_fp8 v[140:143], a[30:31], v[94:95], v[140:143]// 0000000230E4: D3F3008C 0E32BD1E
	v_mfma_f32_16x16x32_fp8_fp8 v[144:147], a[0:1], v[96:97], 0// 0000000230EC: D3F30090 0A02C100
	v_mfma_f32_16x16x32_fp8_fp8 v[144:147], a[2:3], v[98:99], v[144:147]// 0000000230F4: D3F30090 0E42C502
	v_mfma_f32_16x16x32_fp8_fp8 v[144:147], a[4:5], v[100:101], v[144:147]// 0000000230FC: D3F30090 0E42C904
	v_mfma_f32_16x16x32_fp8_fp8 v[144:147], a[6:7], v[102:103], v[144:147]// 000000023104: D3F30090 0E42CD06
	v_mfma_f32_16x16x32_fp8_fp8 v[148:151], a[8:9], v[96:97], 0// 00000002310C: D3F30094 0A02C108
	v_mfma_f32_16x16x32_fp8_fp8 v[148:151], a[10:11], v[98:99], v[148:151]// 000000023114: D3F30094 0E52C50A
	v_mfma_f32_16x16x32_fp8_fp8 v[148:151], a[12:13], v[100:101], v[148:151]// 00000002311C: D3F30094 0E52C90C
	v_mfma_f32_16x16x32_fp8_fp8 v[148:151], a[14:15], v[102:103], v[148:151]// 000000023124: D3F30094 0E52CD0E
	v_mfma_f32_16x16x32_fp8_fp8 v[152:155], a[16:17], v[96:97], 0// 00000002312C: D3F30098 0A02C110
	v_mfma_f32_16x16x32_fp8_fp8 v[152:155], a[18:19], v[98:99], v[152:155]// 000000023134: D3F30098 0E62C512
	v_mfma_f32_16x16x32_fp8_fp8 v[152:155], a[20:21], v[100:101], v[152:155]// 00000002313C: D3F30098 0E62C914
	v_mfma_f32_16x16x32_fp8_fp8 v[152:155], a[22:23], v[102:103], v[152:155]// 000000023144: D3F30098 0E62CD16
	v_mfma_f32_16x16x32_fp8_fp8 v[156:159], a[24:25], v[96:97], 0// 00000002314C: D3F3009C 0A02C118
	v_mfma_f32_16x16x32_fp8_fp8 v[156:159], a[26:27], v[98:99], v[156:159]// 000000023154: D3F3009C 0E72C51A
	v_mfma_f32_16x16x32_fp8_fp8 v[156:159], a[28:29], v[100:101], v[156:159]// 00000002315C: D3F3009C 0E72C91C
	v_mfma_f32_16x16x32_fp8_fp8 v[156:159], a[30:31], v[102:103], v[156:159]// 000000023164: D3F3009C 0E72CD1E
	v_mfma_f32_16x16x32_fp8_fp8 v[160:163], a[0:1], v[104:105], 0// 00000002316C: D3F300A0 0A02D100
	v_mfma_f32_16x16x32_fp8_fp8 v[160:163], a[2:3], v[106:107], v[160:163]// 000000023174: D3F300A0 0E82D502
	v_mfma_f32_16x16x32_fp8_fp8 v[160:163], a[4:5], v[108:109], v[160:163]// 00000002317C: D3F300A0 0E82D904
	v_mfma_f32_16x16x32_fp8_fp8 v[160:163], a[6:7], v[110:111], v[160:163]// 000000023184: D3F300A0 0E82DD06
	v_mfma_f32_16x16x32_fp8_fp8 v[164:167], a[8:9], v[104:105], 0// 00000002318C: D3F300A4 0A02D108
	v_mfma_f32_16x16x32_fp8_fp8 v[164:167], a[10:11], v[106:107], v[164:167]// 000000023194: D3F300A4 0E92D50A
	v_mfma_f32_16x16x32_fp8_fp8 v[164:167], a[12:13], v[108:109], v[164:167]// 00000002319C: D3F300A4 0E92D90C
	v_mfma_f32_16x16x32_fp8_fp8 v[164:167], a[14:15], v[110:111], v[164:167]// 0000000231A4: D3F300A4 0E92DD0E
	v_mfma_f32_16x16x32_fp8_fp8 v[168:171], a[16:17], v[104:105], 0// 0000000231AC: D3F300A8 0A02D110
	v_mfma_f32_16x16x32_fp8_fp8 v[168:171], a[18:19], v[106:107], v[168:171]// 0000000231B4: D3F300A8 0EA2D512
	v_mfma_f32_16x16x32_fp8_fp8 v[168:171], a[20:21], v[108:109], v[168:171]// 0000000231BC: D3F300A8 0EA2D914
	v_mfma_f32_16x16x32_fp8_fp8 v[168:171], a[22:23], v[110:111], v[168:171]// 0000000231C4: D3F300A8 0EA2DD16
	v_mfma_f32_16x16x32_fp8_fp8 v[172:175], a[24:25], v[104:105], 0// 0000000231CC: D3F300AC 0A02D118
	v_mfma_f32_16x16x32_fp8_fp8 v[172:175], a[26:27], v[106:107], v[172:175]// 0000000231D4: D3F300AC 0EB2D51A
	v_mfma_f32_16x16x32_fp8_fp8 v[172:175], a[28:29], v[108:109], v[172:175]// 0000000231DC: D3F300AC 0EB2D91C
	v_mfma_f32_16x16x32_fp8_fp8 v[172:175], a[30:31], v[110:111], v[172:175]// 0000000231E4: D3F300AC 0EB2DD1E
	buffer_load_dword v43, v3, s[32:35], 0 offen               // 0000000231EC: E0501000 80082B03
	v_mov_b32_dpp v64, v42 row_shr:4 row_mask:0xf bank_mask:0xf// 0000000231F4: 7E8002FA FF01142A
	v_mov_b32_dpp v65, v42 row_shl:4 row_mask:0xf bank_mask:0xf// 0000000231FC: 7E8202FA FF01042A
	v_cndmask_b32_e64 v248, v42, v64, s[44:45]                 // 000000023204: D10000F8 00B2812A
	v_cndmask_b32_e64 v249, v65, v42, s[44:45]                 // 00000002320C: D10000F9 00B25541
	v_mov_b32_dpp v64, v248 row_shr:8 row_mask:0xf bank_mask:0xf// 000000023214: 7E8002FA FF0118F8
	v_mov_b32_dpp v65, v248 row_shl:8 row_mask:0xf bank_mask:0xf// 00000002321C: 7E8202FA FF0108F8
	v_mov_b32_dpp v66, v249 row_shr:8 row_mask:0xf bank_mask:0xf// 000000023224: 7E8402FA FF0118F9
	v_mov_b32_dpp v67, v249 row_shl:8 row_mask:0xf bank_mask:0xf// 00000002322C: 7E8602FA FF0108F9
	v_mov_b32_e32 v68, v248                                    // 000000023234: 7E8803F8
	v_mov_b32_e32 v69, v249                                    // 000000023238: 7E8A03F9
	v_cndmask_b32_e64 v248, v68, v64, s[42:43]                 // 00000002323C: D10000F8 00AA8144
	v_cndmask_b32_e64 v250, v68, v65, s[78:79]                 // 000000023244: D10000FA 013A8344
	v_cndmask_b32_e64 v249, v69, v66, s[42:43]                 // 00000002324C: D10000F9 00AA8545
	v_cndmask_b32_e64 v251, v69, v67, s[78:79]                 // 000000023254: D10000FB 013A8745
	v_mov_b32_dpp v64, v57 row_shr:4 row_mask:0xf bank_mask:0xf// 00000002325C: 7E8002FA FF011439
	v_mov_b32_dpp v65, v57 row_shl:4 row_mask:0xf bank_mask:0xf// 000000023264: 7E8202FA FF010439
	v_cndmask_b32_e64 v252, v57, v64, s[44:45]                 // 00000002326C: D10000FC 00B28139
	v_cndmask_b32_e64 v253, v65, v57, s[44:45]                 // 000000023274: D10000FD 00B27341
	v_mov_b32_dpp v64, v252 row_shr:8 row_mask:0xf bank_mask:0xf// 00000002327C: 7E8002FA FF0118FC
	v_mov_b32_dpp v65, v252 row_shl:8 row_mask:0xf bank_mask:0xf// 000000023284: 7E8202FA FF0108FC
	v_mov_b32_dpp v66, v253 row_shr:8 row_mask:0xf bank_mask:0xf// 00000002328C: 7E8402FA FF0118FD
	v_mov_b32_dpp v67, v253 row_shl:8 row_mask:0xf bank_mask:0xf// 000000023294: 7E8602FA FF0108FD
	v_mov_b32_e32 v68, v252                                    // 00000002329C: 7E8803FC
	v_mov_b32_e32 v69, v253                                    // 0000000232A0: 7E8A03FD
	v_cndmask_b32_e64 v252, v68, v64, s[42:43]                 // 0000000232A4: D10000FC 00AA8144
	v_cndmask_b32_e64 v254, v68, v65, s[78:79]                 // 0000000232AC: D10000FE 013A8344
	v_cndmask_b32_e64 v253, v69, v66, s[42:43]                 // 0000000232B4: D10000FD 00AA8545
	v_cndmask_b32_e64 v255, v69, v67, s[78:79]                 // 0000000232BC: D10000FF 013A8745
	buffer_load_dword v58, v56, s[36:39], 0 offen              // 0000000232C4: E0501000 80093A38
	v_mul_f32_e32 v112, v18, v112                              // 0000000232CC: 0AE0E112
	v_mul_f32_e32 v113, v18, v113                              // 0000000232D0: 0AE2E312
	v_mul_f32_e32 v114, v18, v114                              // 0000000232D4: 0AE4E512
	v_mul_f32_e32 v115, v18, v115                              // 0000000232D8: 0AE6E712
	v_mul_f32_e32 v116, v18, v116                              // 0000000232DC: 0AE8E912
	v_mul_f32_e32 v117, v18, v117                              // 0000000232E0: 0AEAEB12
	v_mul_f32_e32 v118, v18, v118                              // 0000000232E4: 0AECED12
	v_mul_f32_e32 v119, v18, v119                              // 0000000232E8: 0AEEEF12
	v_mul_f32_e32 v120, v18, v120                              // 0000000232EC: 0AF0F112
	v_mul_f32_e32 v121, v18, v121                              // 0000000232F0: 0AF2F312
	v_mul_f32_e32 v122, v18, v122                              // 0000000232F4: 0AF4F512
	v_mul_f32_e32 v123, v18, v123                              // 0000000232F8: 0AF6F712
	v_mul_f32_e32 v124, v18, v124                              // 0000000232FC: 0AF8F912
	v_mul_f32_e32 v125, v18, v125                              // 000000023300: 0AFAFB12
	v_mul_f32_e32 v126, v18, v126                              // 000000023304: 0AFCFD12
	v_mul_f32_e32 v127, v18, v127                              // 000000023308: 0AFEFF12
	buffer_load_dwordx4 a[48:51], v28, s[16:19], 0 offen       // 00000002330C: E05C1000 8084301C
	v_mul_f32_dpp v112, v248, v112 quad_perm:[0,0,0,0] row_mask:0xf bank_mask:0xf// 000000023314: 0AE0E0FA FF0000F8
	v_mul_f32_dpp v113, v248, v113 quad_perm:[1,1,1,1] row_mask:0xf bank_mask:0xf// 00000002331C: 0AE2E2FA FF0055F8
	v_mul_f32_dpp v114, v248, v114 quad_perm:[2,2,2,2] row_mask:0xf bank_mask:0xf// 000000023324: 0AE4E4FA FF00AAF8
	v_mul_f32_dpp v115, v248, v115 quad_perm:[3,3,3,3] row_mask:0xf bank_mask:0xf// 00000002332C: 0AE6E6FA FF00FFF8
	v_mul_f32_dpp v116, v249, v116 quad_perm:[0,0,0,0] row_mask:0xf bank_mask:0xf// 000000023334: 0AE8E8FA FF0000F9
	v_mul_f32_dpp v117, v249, v117 quad_perm:[1,1,1,1] row_mask:0xf bank_mask:0xf// 00000002333C: 0AEAEAFA FF0055F9
	v_mul_f32_dpp v118, v249, v118 quad_perm:[2,2,2,2] row_mask:0xf bank_mask:0xf// 000000023344: 0AECECFA FF00AAF9
	v_mul_f32_dpp v119, v249, v119 quad_perm:[3,3,3,3] row_mask:0xf bank_mask:0xf// 00000002334C: 0AEEEEFA FF00FFF9
	v_mul_f32_dpp v120, v250, v120 quad_perm:[0,0,0,0] row_mask:0xf bank_mask:0xf// 000000023354: 0AF0F0FA FF0000FA
	v_mul_f32_dpp v121, v250, v121 quad_perm:[1,1,1,1] row_mask:0xf bank_mask:0xf// 00000002335C: 0AF2F2FA FF0055FA
	v_mul_f32_dpp v122, v250, v122 quad_perm:[2,2,2,2] row_mask:0xf bank_mask:0xf// 000000023364: 0AF4F4FA FF00AAFA
	v_mul_f32_dpp v123, v250, v123 quad_perm:[3,3,3,3] row_mask:0xf bank_mask:0xf// 00000002336C: 0AF6F6FA FF00FFFA
	v_mul_f32_dpp v124, v251, v124 quad_perm:[0,0,0,0] row_mask:0xf bank_mask:0xf// 000000023374: 0AF8F8FA FF0000FB
	v_mul_f32_dpp v125, v251, v125 quad_perm:[1,1,1,1] row_mask:0xf bank_mask:0xf// 00000002337C: 0AFAFAFA FF0055FB
	v_mul_f32_dpp v126, v251, v126 quad_perm:[2,2,2,2] row_mask:0xf bank_mask:0xf// 000000023384: 0AFCFCFA FF00AAFB
	v_mul_f32_dpp v127, v251, v127 quad_perm:[3,3,3,3] row_mask:0xf bank_mask:0xf// 00000002338C: 0AFEFEFA FF00FFFB
	buffer_load_dwordx4 a[52:55], v28, s[16:19], 0 offen offset:1024// 000000023394: E05C1400 8084341C
	s_cmp_le_i32 s90, s89                                      // 00000002339C: BF05595A
	s_cbranch_scc1 label_84DA                                  // 0000000233A0: BF850071
	v_mov_b32_e32 v66, 0xff800000                              // 0000000233A4: 7E8402FF FF800000
	s_mov_b32 s60, s90                                         // 0000000233AC: BEBC005A
	s_add_u32 s61, s89, 0xff                                   // 0000000233B0: 803DFF59 000000FF
	v_mov_b32_e32 v64, s61                                     // 0000000233B8: 7E80023D
	v_lshrrev_b32_e32 v240, 4, v0                              // 0000000233BC: 21E00084
	v_mul_i32_i24_e32 v240, 4, v240                            // 0000000233C0: 0DE1E084
	v_add_u32_e32 v240, s60, v240                              // 0000000233C4: 69E1E03C
	s_mov_b32 s61, 0                                           // 0000000233C8: BEBD0080
	s_mul_i32 s60, 16, s7                                      // 0000000233CC: 923C0790
	v_sub_u32_e64 v240, v240, s61                              // 0000000233D0: D13500F0 00007BF0
	v_add_u32_e32 v240, s60, v240                              // 0000000233D8: 69E1E03C
	v_add_u32_e32 v241, 1, v240                                // 0000000233DC: 69E3E081
	v_add_u32_e32 v242, 2, v240                                // 0000000233E0: 69E5E082
	v_add_u32_e32 v243, 3, v240                                // 0000000233E4: 69E7E083
	v_cmp_le_u32_e64 s[40:41], v240, v64                       // 0000000233E8: D0CB0028 000281F0
	v_add_u32_e32 v240, 64, v240                               // 0000000233F0: 69E1E0C0
	s_nop 0                                                    // 0000000233F4: BF800000
	v_cndmask_b32_e64 v112, v66, v112, s[40:41]                // 0000000233F8: D1000070 00A2E142
	v_cmp_le_u32_e64 s[40:41], v241, v64                       // 000000023400: D0CB0028 000281F1
	v_add_u32_e32 v241, 64, v241                               // 000000023408: 69E3E2C0
	s_nop 0                                                    // 00000002340C: BF800000
	v_cndmask_b32_e64 v113, v66, v113, s[40:41]                // 000000023410: D1000071 00A2E342
	v_cmp_le_u32_e64 s[40:41], v242, v64                       // 000000023418: D0CB0028 000281F2
	v_add_u32_e32 v242, 64, v242                               // 000000023420: 69E5E4C0
	s_nop 0                                                    // 000000023424: BF800000
	v_cndmask_b32_e64 v114, v66, v114, s[40:41]                // 000000023428: D1000072 00A2E542
	v_cmp_le_u32_e64 s[40:41], v243, v64                       // 000000023430: D0CB0028 000281F3
	v_add_u32_e32 v243, 64, v243                               // 000000023438: 69E7E6C0
	s_nop 0                                                    // 00000002343C: BF800000
	v_cndmask_b32_e64 v115, v66, v115, s[40:41]                // 000000023440: D1000073 00A2E742
	v_cmp_le_u32_e64 s[40:41], v240, v64                       // 000000023448: D0CB0028 000281F0
	v_add_u32_e32 v240, 64, v240                               // 000000023450: 69E1E0C0
	s_nop 0                                                    // 000000023454: BF800000
	v_cndmask_b32_e64 v116, v66, v116, s[40:41]                // 000000023458: D1000074 00A2E942
	v_cmp_le_u32_e64 s[40:41], v241, v64                       // 000000023460: D0CB0028 000281F1
	v_add_u32_e32 v241, 64, v241                               // 000000023468: 69E3E2C0
	s_nop 0                                                    // 00000002346C: BF800000
	v_cndmask_b32_e64 v117, v66, v117, s[40:41]                // 000000023470: D1000075 00A2EB42
	v_cmp_le_u32_e64 s[40:41], v242, v64                       // 000000023478: D0CB0028 000281F2
	v_add_u32_e32 v242, 64, v242                               // 000000023480: 69E5E4C0
	s_nop 0                                                    // 000000023484: BF800000
	v_cndmask_b32_e64 v118, v66, v118, s[40:41]                // 000000023488: D1000076 00A2ED42
	v_cmp_le_u32_e64 s[40:41], v243, v64                       // 000000023490: D0CB0028 000281F3
	v_add_u32_e32 v243, 64, v243                               // 000000023498: 69E7E6C0
	s_nop 0                                                    // 00000002349C: BF800000
	v_cndmask_b32_e64 v119, v66, v119, s[40:41]                // 0000000234A0: D1000077 00A2EF42
	v_cmp_le_u32_e64 s[40:41], v240, v64                       // 0000000234A8: D0CB0028 000281F0
	v_add_u32_e32 v240, 64, v240                               // 0000000234B0: 69E1E0C0
	s_nop 0                                                    // 0000000234B4: BF800000
	v_cndmask_b32_e64 v120, v66, v120, s[40:41]                // 0000000234B8: D1000078 00A2F142
	v_cmp_le_u32_e64 s[40:41], v241, v64                       // 0000000234C0: D0CB0028 000281F1
	v_add_u32_e32 v241, 64, v241                               // 0000000234C8: 69E3E2C0
	s_nop 0                                                    // 0000000234CC: BF800000
	v_cndmask_b32_e64 v121, v66, v121, s[40:41]                // 0000000234D0: D1000079 00A2F342
	v_cmp_le_u32_e64 s[40:41], v242, v64                       // 0000000234D8: D0CB0028 000281F2
	v_add_u32_e32 v242, 64, v242                               // 0000000234E0: 69E5E4C0
	s_nop 0                                                    // 0000000234E4: BF800000
	v_cndmask_b32_e64 v122, v66, v122, s[40:41]                // 0000000234E8: D100007A 00A2F542
	v_cmp_le_u32_e64 s[40:41], v243, v64                       // 0000000234F0: D0CB0028 000281F3
	v_add_u32_e32 v243, 64, v243                               // 0000000234F8: 69E7E6C0
	s_nop 0                                                    // 0000000234FC: BF800000
	v_cndmask_b32_e64 v123, v66, v123, s[40:41]                // 000000023500: D100007B 00A2F742
	v_cmp_le_u32_e64 s[40:41], v240, v64                       // 000000023508: D0CB0028 000281F0
	v_add_u32_e32 v240, 64, v240                               // 000000023510: 69E1E0C0
	s_nop 0                                                    // 000000023514: BF800000
	v_cndmask_b32_e64 v124, v66, v124, s[40:41]                // 000000023518: D100007C 00A2F942
	v_cmp_le_u32_e64 s[40:41], v241, v64                       // 000000023520: D0CB0028 000281F1
	v_add_u32_e32 v241, 64, v241                               // 000000023528: 69E3E2C0
	s_nop 0                                                    // 00000002352C: BF800000
	v_cndmask_b32_e64 v125, v66, v125, s[40:41]                // 000000023530: D100007D 00A2FB42
	v_cmp_le_u32_e64 s[40:41], v242, v64                       // 000000023538: D0CB0028 000281F2
	v_add_u32_e32 v242, 64, v242                               // 000000023540: 69E5E4C0
	s_nop 0                                                    // 000000023544: BF800000
	v_cndmask_b32_e64 v126, v66, v126, s[40:41]                // 000000023548: D100007E 00A2FD42
	v_cmp_le_u32_e64 s[40:41], v243, v64                       // 000000023550: D0CB0028 000281F3
	v_add_u32_e32 v243, 64, v243                               // 000000023558: 69E7E6C0
	s_nop 0                                                    // 00000002355C: BF800000
	v_cndmask_b32_e64 v127, v66, v127, s[40:41]                // 000000023560: D100007F 00A2FF42

0000000000023568 <label_84DA>:
	v_mov_b32_e32 v48, v112                                    // 000000023568: 7E600370
	v_max3_f32 v48, v112, v113, v48                            // 00000002356C: D1D30030 04C2E370
	v_max3_f32 v48, v114, v115, v48                            // 000000023574: D1D30030 04C2E772
	v_max3_f32 v48, v116, v117, v48                            // 00000002357C: D1D30030 04C2EB74
	v_max3_f32 v48, v118, v119, v48                            // 000000023584: D1D30030 04C2EF76
	v_max3_f32 v48, v120, v121, v48                            // 00000002358C: D1D30030 04C2F378
	v_max3_f32 v48, v122, v123, v48                            // 000000023594: D1D30030 04C2F77A
	v_max3_f32 v48, v124, v125, v48                            // 00000002359C: D1D30030 04C2FB7C
	v_max3_f32 v48, v126, v127, v48                            // 0000000235A4: D1D30030 04C2FF7E
	ds_write_b32 v8, v48 offset:16896                          // 0000000235AC: D81A4200 00003008
	buffer_load_dwordx4 a[56:59], v29, s[16:19], 0 offen       // 0000000235B4: E05C1000 8084381D
	v_mul_u32_u24_dpp v64, v17, v54 row_newbcast:1 row_mask:0xf bank_mask:0xf// 0000000235BC: 10806CFA FF015111
	v_mul_u32_u24_dpp v65, v17, v54 row_newbcast:5 row_mask:0xf bank_mask:0xf// 0000000235C4: 10826CFA FF015511
	v_mul_u32_u24_dpp v66, v17, v54 row_newbcast:9 row_mask:0xf bank_mask:0xf// 0000000235CC: 10846CFA FF015911
	v_mul_u32_u24_dpp v67, v17, v54 row_newbcast:13 row_mask:0xf bank_mask:0xf// 0000000235D4: 10866CFA FF015D11
	v_add_u32_e32 v34, v64, v6                                 // 0000000235DC: 68440D40
	v_add_u32_e32 v35, v65, v6                                 // 0000000235E0: 68460D41
	v_add_u32_e32 v36, v66, v6                                 // 0000000235E4: 68480D42
	v_add_u32_e32 v37, v67, v6                                 // 0000000235E8: 684A0D43
	v_mul_f32_e32 v208, v49, v208                              // 0000000235EC: 0BA1A131
	v_mul_f32_e32 v209, v49, v209                              // 0000000235F0: 0BA3A331
	v_mul_f32_e32 v210, v49, v210                              // 0000000235F4: 0BA5A531
	v_mul_f32_e32 v211, v49, v211                              // 0000000235F8: 0BA7A731
	v_mul_f32_e32 v212, v49, v212                              // 0000000235FC: 0BA9A931
	v_mul_f32_e32 v213, v49, v213                              // 000000023600: 0BABAB31
	v_mul_f32_e32 v214, v49, v214                              // 000000023604: 0BADAD31
	v_mul_f32_e32 v215, v49, v215                              // 000000023608: 0BAFAF31
	s_waitcnt lgkmcnt(0)                                       // 00000002360C: BF8CC07F
	s_barrier                                                  // 000000023610: BF8A0000
	ds_read_b32 v64, v7 offset:16896                           // 000000023614: D86C4200 40000007
	ds_read_b32 v65, v7 offset:16960                           // 00000002361C: D86C4240 41000007
	ds_read_b32 v66, v7 offset:17024                           // 000000023624: D86C4280 42000007
	ds_read_b32 v67, v7 offset:17088                           // 00000002362C: D86C42C0 43000007
	ds_read_b32 v68, v7 offset:17152                           // 000000023634: D86C4300 44000007
	ds_read_b32 v69, v7 offset:17216                           // 00000002363C: D86C4340 45000007
	ds_read_b32 v70, v7 offset:17280                           // 000000023644: D86C4380 46000007
	ds_read_b32 v71, v7 offset:17344                           // 00000002364C: D86C43C0 47000007
	ds_read_b32 v72, v7 offset:17408                           // 000000023654: D86C4400 48000007
	ds_read_b32 v73, v7 offset:17472                           // 00000002365C: D86C4440 49000007
	ds_read_b32 v74, v7 offset:17536                           // 000000023664: D86C4480 4A000007
	ds_read_b32 v75, v7 offset:17600                           // 00000002366C: D86C44C0 4B000007
	ds_read_b32 v76, v7 offset:17664                           // 000000023674: D86C4500 4C000007
	ds_read_b32 v77, v7 offset:17728                           // 00000002367C: D86C4540 4D000007
	ds_read_b32 v78, v7 offset:17792                           // 000000023684: D86C4580 4E000007
	ds_read_b32 v79, v7 offset:17856                           // 00000002368C: D86C45C0 4F000007
	buffer_load_dwordx4 a[60:63], v29, s[16:19], 0 offen offset:1024// 000000023694: E05C1400 80843C1D
	v_mul_f32_e32 v176, v44, v176                              // 00000002369C: 0B61612C
	v_mul_f32_e32 v177, v44, v177                              // 0000000236A0: 0B63632C
	v_mul_f32_e32 v178, v44, v178                              // 0000000236A4: 0B65652C
	v_mul_f32_e32 v179, v44, v179                              // 0000000236A8: 0B67672C
	v_mul_f32_e32 v180, v44, v180                              // 0000000236AC: 0B69692C
	v_mul_f32_e32 v181, v44, v181                              // 0000000236B0: 0B6B6B2C
	v_mul_f32_e32 v182, v44, v182                              // 0000000236B4: 0B6D6D2C
	v_mul_f32_e32 v183, v44, v183                              // 0000000236B8: 0B6F6F2C
	s_waitcnt lgkmcnt(0)                                       // 0000000236BC: BF8CC07F
	v_max3_f32 v48, v64, v65, v48                              // 0000000236C0: D1D30030 04C28340
	v_max3_f32 v48, v66, v67, v48                              // 0000000236C8: D1D30030 04C28742
	v_max3_f32 v48, v68, v69, v48                              // 0000000236D0: D1D30030 04C28B44
	v_max3_f32 v48, v70, v71, v48                              // 0000000236D8: D1D30030 04C28F46
	v_max3_f32 v48, v72, v73, v48                              // 0000000236E0: D1D30030 04C29348
	v_max3_f32 v48, v74, v75, v48                              // 0000000236E8: D1D30030 04C2974A
	v_max3_f32 v48, v76, v77, v48                              // 0000000236F0: D1D30030 04C29B4C
	v_max3_f32 v48, v78, v79, v48                              // 0000000236F8: D1D30030 04C29F4E
	buffer_load_dwordx4 a[96:99], v34, s[20:23], 0 offen       // 000000023700: E05C1000 80856022
	v_mov_b32_e32 v64, 0xff800000                              // 000000023708: 7E8002FF FF800000
	v_cmp_eq_u32_e64 s[40:41], v64, v11                        // 000000023710: D0CA0028 00021740
	s_nop 1                                                    // 000000023718: BF800001
	v_max_f32_e32 v15, v48, v11                                // 00000002371C: 161E1730
	v_mul_f32_e32 v53, s64, v15                                // 000000023720: 0A6A1E40
	v_fma_f32 v112, v112, s64, -v53                            // 000000023724: D1CB0070 84D48170
	v_fma_f32 v113, v113, s64, -v53                            // 00000002372C: D1CB0071 84D48171
	v_fma_f32 v114, v114, s64, -v53                            // 000000023734: D1CB0072 84D48172
	v_fma_f32 v115, v115, s64, -v53                            // 00000002373C: D1CB0073 84D48173
	v_fma_f32 v116, v116, s64, -v53                            // 000000023744: D1CB0074 84D48174
	v_fma_f32 v117, v117, s64, -v53                            // 00000002374C: D1CB0075 84D48175
	v_fma_f32 v118, v118, s64, -v53                            // 000000023754: D1CB0076 84D48176
	v_fma_f32 v119, v119, s64, -v53                            // 00000002375C: D1CB0077 84D48177
	v_fma_f32 v120, v120, s64, -v53                            // 000000023764: D1CB0078 84D48178
	v_fma_f32 v121, v121, s64, -v53                            // 00000002376C: D1CB0079 84D48179
	v_fma_f32 v122, v122, s64, -v53                            // 000000023774: D1CB007A 84D4817A
	v_fma_f32 v123, v123, s64, -v53                            // 00000002377C: D1CB007B 84D4817B
	v_fma_f32 v124, v124, s64, -v53                            // 000000023784: D1CB007C 84D4817C
	v_fma_f32 v125, v125, s64, -v53                            // 00000002378C: D1CB007D 84D4817D
	v_fma_f32 v126, v126, s64, -v53                            // 000000023794: D1CB007E 84D4817E
	v_fma_f32 v127, v127, s64, -v53                            // 00000002379C: D1CB007F 84D4817F
	buffer_load_dwordx4 a[100:103], v35, s[20:23], 0 offen     // 0000000237A4: E05C1000 80856423
	v_exp_f32_e32 v112, v112                                   // 0000000237AC: 7EE04170
	v_exp_f32_e32 v113, v113                                   // 0000000237B0: 7EE24171
	v_exp_f32_e32 v114, v114                                   // 0000000237B4: 7EE44172
	v_exp_f32_e32 v115, v115                                   // 0000000237B8: 7EE64173
	v_exp_f32_e32 v116, v116                                   // 0000000237BC: 7EE84174
	v_exp_f32_e32 v117, v117                                   // 0000000237C0: 7EEA4175
	v_exp_f32_e32 v118, v118                                   // 0000000237C4: 7EEC4176
	v_exp_f32_e32 v119, v119                                   // 0000000237C8: 7EEE4177
	v_exp_f32_e32 v120, v120                                   // 0000000237CC: 7EF04178
	v_exp_f32_e32 v121, v121                                   // 0000000237D0: 7EF24179
	v_exp_f32_e32 v122, v122                                   // 0000000237D4: 7EF4417A
	v_exp_f32_e32 v123, v123                                   // 0000000237D8: 7EF6417B
	v_exp_f32_e32 v124, v124                                   // 0000000237DC: 7EF8417C
	v_exp_f32_e32 v125, v125                                   // 0000000237E0: 7EFA417D
	v_exp_f32_e32 v126, v126                                   // 0000000237E4: 7EFC417E
	v_exp_f32_e32 v127, v127                                   // 0000000237E8: 7EFE417F
	buffer_load_dwordx4 a[104:107], v36, s[20:23], 0 offen     // 0000000237EC: E05C1000 80856824
	v_mul_f32_dpp v240, v252, v112 quad_perm:[0,0,0,0] row_mask:0xf bank_mask:0xf// 0000000237F4: 0BE0E0FA FF0000FC
	v_mul_f32_dpp v241, v252, v113 quad_perm:[1,1,1,1] row_mask:0xf bank_mask:0xf// 0000000237FC: 0BE2E2FA FF0055FC
	v_mul_f32_dpp v242, v252, v114 quad_perm:[2,2,2,2] row_mask:0xf bank_mask:0xf// 000000023804: 0BE4E4FA FF00AAFC
	v_mul_f32_dpp v243, v252, v115 quad_perm:[3,3,3,3] row_mask:0xf bank_mask:0xf// 00000002380C: 0BE6E6FA FF00FFFC
	v_mul_f32_dpp v244, v253, v116 quad_perm:[0,0,0,0] row_mask:0xf bank_mask:0xf// 000000023814: 0BE8E8FA FF0000FD
	v_mul_f32_dpp v245, v253, v117 quad_perm:[1,1,1,1] row_mask:0xf bank_mask:0xf// 00000002381C: 0BEAEAFA FF0055FD
	v_mul_f32_dpp v246, v253, v118 quad_perm:[2,2,2,2] row_mask:0xf bank_mask:0xf// 000000023824: 0BECECFA FF00AAFD
	v_mul_f32_dpp v247, v253, v119 quad_perm:[3,3,3,3] row_mask:0xf bank_mask:0xf// 00000002382C: 0BEEEEFA FF00FFFD
	v_mul_f32_dpp v248, v254, v120 quad_perm:[0,0,0,0] row_mask:0xf bank_mask:0xf// 000000023834: 0BF0F0FA FF0000FE
	v_mul_f32_dpp v249, v254, v121 quad_perm:[1,1,1,1] row_mask:0xf bank_mask:0xf// 00000002383C: 0BF2F2FA FF0055FE
	v_mul_f32_dpp v250, v254, v122 quad_perm:[2,2,2,2] row_mask:0xf bank_mask:0xf// 000000023844: 0BF4F4FA FF00AAFE
	v_mul_f32_dpp v251, v254, v123 quad_perm:[3,3,3,3] row_mask:0xf bank_mask:0xf// 00000002384C: 0BF6F6FA FF00FFFE
	v_mul_f32_dpp v252, v255, v124 quad_perm:[0,0,0,0] row_mask:0xf bank_mask:0xf// 000000023854: 0BF8F8FA FF0000FF
	v_mul_f32_dpp v253, v255, v125 quad_perm:[1,1,1,1] row_mask:0xf bank_mask:0xf// 00000002385C: 0BFAFAFA FF0055FF
	v_mul_f32_dpp v254, v255, v126 quad_perm:[2,2,2,2] row_mask:0xf bank_mask:0xf// 000000023864: 0BFCFCFA FF00AAFF
	v_mul_f32_dpp v255, v255, v127 quad_perm:[3,3,3,3] row_mask:0xf bank_mask:0xf// 00000002386C: 0BFEFEFA FF00FFFF
	v_mov_b32_e32 v48, 0x358637bd                              // 000000023874: 7E6002FF 358637BD
	v_max3_f32 v48, |v240|, |v241|, v48                        // 00000002387C: D1D30330 04C3E3F0
	v_max3_f32 v48, |v242|, |v243|, v48                        // 000000023884: D1D30330 04C3E7F2
	v_max3_f32 v48, |v244|, |v245|, v48                        // 00000002388C: D1D30330 04C3EBF4
	v_max3_f32 v48, |v246|, |v247|, v48                        // 000000023894: D1D30330 04C3EFF6
	v_max3_f32 v48, |v248|, |v249|, v48                        // 00000002389C: D1D30330 04C3F3F8
	v_max3_f32 v48, |v250|, |v251|, v48                        // 0000000238A4: D1D30330 04C3F7FA
	v_max3_f32 v48, |v252|, |v253|, v48                        // 0000000238AC: D1D30330 04C3FBFC
	v_max3_f32 v48, |v254|, |v255|, v48                        // 0000000238B4: D1D30330 04C3FFFE
	buffer_load_dwordx4 a[108:111], v37, s[20:23], 0 offen     // 0000000238BC: E05C1000 80856C25
	ds_write_b32 v8, v48 offset:20992                          // 0000000238C4: D81A5200 00003008
	v_sub_f32_e32 v49, v11, v15                                // 0000000238CC: 04621F0B
	v_cndmask_b32_e64 v49, v49, 0, s[40:41]                    // 0000000238D0: D1000031 00A10131
	v_mov_b32_e32 v11, v15                                     // 0000000238D8: 7E16030F
	v_mul_f32_e32 v49, s64, v49                                // 0000000238DC: 0A626240
	v_exp_f32_e32 v49, v49                                     // 0000000238E0: 7E624131
	s_waitcnt lgkmcnt(0)                                       // 0000000238E4: BF8CC07F
	s_barrier                                                  // 0000000238E8: BF8A0000
	ds_read_b32 v64, v7 offset:20992                           // 0000000238EC: D86C5200 40000007
	ds_read_b32 v65, v7 offset:21056                           // 0000000238F4: D86C5240 41000007
	ds_read_b32 v66, v7 offset:21120                           // 0000000238FC: D86C5280 42000007
	ds_read_b32 v67, v7 offset:21184                           // 000000023904: D86C52C0 43000007
	ds_read_b32 v68, v7 offset:21248                           // 00000002390C: D86C5300 44000007
	ds_read_b32 v69, v7 offset:21312                           // 000000023914: D86C5340 45000007
	ds_read_b32 v70, v7 offset:21376                           // 00000002391C: D86C5380 46000007
	ds_read_b32 v71, v7 offset:21440                           // 000000023924: D86C53C0 47000007
	ds_read_b32 v72, v7 offset:21504                           // 00000002392C: D86C5400 48000007
	ds_read_b32 v73, v7 offset:21568                           // 000000023934: D86C5440 49000007
	ds_read_b32 v74, v7 offset:21632                           // 00000002393C: D86C5480 4A000007
	ds_read_b32 v75, v7 offset:21696                           // 000000023944: D86C54C0 4B000007
	ds_read_b32 v76, v7 offset:21760                           // 00000002394C: D86C5500 4C000007
	ds_read_b32 v77, v7 offset:21824                           // 000000023954: D86C5540 4D000007
	ds_read_b32 v78, v7 offset:21888                           // 00000002395C: D86C5580 4E000007
	ds_read_b32 v79, v7 offset:21952                           // 000000023964: D86C55C0 4F000007
	v_mul_f32_e32 v38, v49, v38                                // 00000002396C: 0A4C4D31
	v_mov_b32_e32 v15, v112                                    // 000000023970: 7E1E0370
	v_add_f32_e32 v15, v113, v15                               // 000000023974: 021E1F71
	v_add_f32_e32 v15, v114, v15                               // 000000023978: 021E1F72
	v_add_f32_e32 v15, v115, v15                               // 00000002397C: 021E1F73
	v_add_f32_e32 v15, v116, v15                               // 000000023980: 021E1F74
	v_add_f32_e32 v15, v117, v15                               // 000000023984: 021E1F75
	v_add_f32_e32 v15, v118, v15                               // 000000023988: 021E1F76
	v_add_f32_e32 v15, v119, v15                               // 00000002398C: 021E1F77
	v_add_f32_e32 v15, v120, v15                               // 000000023990: 021E1F78
	v_add_f32_e32 v15, v121, v15                               // 000000023994: 021E1F79
	v_add_f32_e32 v15, v122, v15                               // 000000023998: 021E1F7A
	v_add_f32_e32 v15, v123, v15                               // 00000002399C: 021E1F7B
	v_add_f32_e32 v15, v124, v15                               // 0000000239A0: 021E1F7C
	v_add_f32_e32 v15, v125, v15                               // 0000000239A4: 021E1F7D
	v_add_f32_e32 v15, v126, v15                               // 0000000239A8: 021E1F7E
	v_add_f32_e32 v15, v127, v15                               // 0000000239AC: 021E1F7F
	v_add_f32_e32 v38, v15, v38                                // 0000000239B0: 024C4D0F
	s_waitcnt lgkmcnt(0)                                       // 0000000239B4: BF8CC07F
	v_max3_f32 v48, |v64|, |v65|, v48                          // 0000000239B8: D1D30330 04C28340
	v_max3_f32 v48, |v66|, |v67|, v48                          // 0000000239C0: D1D30330 04C28742
	v_max3_f32 v48, |v68|, |v69|, v48                          // 0000000239C8: D1D30330 04C28B44
	v_max3_f32 v48, |v70|, |v71|, v48                          // 0000000239D0: D1D30330 04C28F46
	v_max3_f32 v48, |v72|, |v73|, v48                          // 0000000239D8: D1D30330 04C29348
	v_max3_f32 v48, |v74|, |v75|, v48                          // 0000000239E0: D1D30330 04C2974A
	v_max3_f32 v48, |v76|, |v77|, v48                          // 0000000239E8: D1D30330 04C29B4C
	v_max3_f32 v48, |v78|, |v79|, v48                          // 0000000239F0: D1D30330 04C29F4E
	s_nop 2                                                    // 0000000239F8: BF800002
	v_rcp_f32_e32 v48, v48                                     // 0000000239FC: 7E604530
	s_nop 1                                                    // 000000023A00: BF800001
	v_mul_f32_e32 v48, 0x43e00000, v48                         // 000000023A04: 0A6060FF 43E00000
	v_mul_f32_e32 v112, v48, v240                              // 000000023A0C: 0AE1E130
	v_mul_f32_e32 v113, v48, v241                              // 000000023A10: 0AE3E330
	v_mul_f32_e32 v114, v48, v242                              // 000000023A14: 0AE5E530
	v_mul_f32_e32 v115, v48, v243                              // 000000023A18: 0AE7E730
	v_mul_f32_e32 v116, v48, v244                              // 000000023A1C: 0AE9E930
	v_mul_f32_e32 v117, v48, v245                              // 000000023A20: 0AEBEB30
	v_mul_f32_e32 v118, v48, v246                              // 000000023A24: 0AEDED30
	v_mul_f32_e32 v119, v48, v247                              // 000000023A28: 0AEFEF30
	v_mul_f32_e32 v120, v48, v248                              // 000000023A2C: 0AF1F130
	v_mul_f32_e32 v121, v48, v249                              // 000000023A30: 0AF3F330
	v_mul_f32_e32 v122, v48, v250                              // 000000023A34: 0AF5F530
	v_mul_f32_e32 v123, v48, v251                              // 000000023A38: 0AF7F730
	v_mul_f32_e32 v124, v48, v252                              // 000000023A3C: 0AF9F930
	v_mul_f32_e32 v125, v48, v253                              // 000000023A40: 0AFBFB30
	v_mul_f32_e32 v126, v48, v254                              // 000000023A44: 0AFDFD30
	v_mul_f32_e32 v127, v48, v255                              // 000000023A48: 0AFFFF30
	v_cvt_pk_fp8_f32 v112, v112, v113                          // 000000023A4C: D2A20070 0002E370
	v_cvt_pk_fp8_f32 v112, v114, v115 op_sel:[0,0,1]           // 000000023A54: D2A24070 0002E772
	v_cvt_pk_fp8_f32 v113, v116, v117                          // 000000023A5C: D2A20071 0002EB74
	v_cvt_pk_fp8_f32 v113, v118, v119 op_sel:[0,0,1]           // 000000023A64: D2A24071 0002EF76
	v_cvt_pk_fp8_f32 v114, v120, v121                          // 000000023A6C: D2A20072 0002F378
	v_cvt_pk_fp8_f32 v114, v122, v123 op_sel:[0,0,1]           // 000000023A74: D2A24072 0002F77A
	v_cvt_pk_fp8_f32 v115, v124, v125                          // 000000023A7C: D2A20073 0002FB7C
	v_cvt_pk_fp8_f32 v115, v126, v127 op_sel:[0,0,1]           // 000000023A84: D2A24073 0002FF7E
	ds_write_b32 v10, v112 offset:25088                        // 000000023A8C: D81A6200 0000700A
	ds_write_b32 v10, v113 offset:26112                        // 000000023A94: D81A6600 0000710A
	ds_write_b32 v10, v114 offset:27136                        // 000000023A9C: D81A6A00 0000720A
	ds_write_b32 v10, v115 offset:28160                        // 000000023AA4: D81A6E00 0000730A
	v_add_f32_e32 v208, v208, v176                             // 000000023AAC: 03A161D0
	v_add_f32_e32 v209, v209, v177                             // 000000023AB0: 03A363D1
	v_add_f32_e32 v210, v210, v178                             // 000000023AB4: 03A565D2
	v_add_f32_e32 v211, v211, v179                             // 000000023AB8: 03A767D3
	v_add_f32_e32 v212, v212, v180                             // 000000023ABC: 03A969D4
	v_add_f32_e32 v213, v213, v181                             // 000000023AC0: 03AB6BD5
	v_add_f32_e32 v214, v214, v182                             // 000000023AC4: 03AD6DD6
	v_add_f32_e32 v215, v215, v183                             // 000000023AC8: 03AF6FD7
	v_rcp_f32_e32 v44, v48                                     // 000000023ACC: 7E584530
	s_waitcnt lgkmcnt(0)                                       // 000000023AD0: BF8CC07F
	s_barrier                                                  // 000000023AD4: BF8A0000
	ds_read_b64 v[112:113], v9 offset:25088                    // 000000023AD8: D8EC6200 70000009
	ds_read_b64 v[114:115], v9 offset:25216                    // 000000023AE0: D8EC6280 72000009
	ds_read_b64 v[116:117], v9 offset:26112                    // 000000023AE8: D8EC6600 74000009
	ds_read_b64 v[118:119], v9 offset:26240                    // 000000023AF0: D8EC6680 76000009
	ds_read_b64 v[120:121], v9 offset:27136                    // 000000023AF8: D8EC6A00 78000009
	ds_read_b64 v[122:123], v9 offset:27264                    // 000000023B00: D8EC6A80 7A000009
	ds_read_b64 v[124:125], v9 offset:28160                    // 000000023B08: D8EC6E00 7C000009
	ds_read_b64 v[126:127], v9 offset:28288                    // 000000023B10: D8EC6E80 7E000009
	v_mov_b32_dpp v64, v42 row_shr:4 row_mask:0xf bank_mask:0xf// 000000023B18: 7E8002FA FF01142A
	v_mov_b32_dpp v65, v42 row_shl:4 row_mask:0xf bank_mask:0xf// 000000023B20: 7E8202FA FF01042A
	v_cndmask_b32_e64 v248, v42, v64, s[44:45]                 // 000000023B28: D10000F8 00B2812A
	v_cndmask_b32_e64 v249, v65, v42, s[44:45]                 // 000000023B30: D10000F9 00B25541
	v_mov_b32_dpp v64, v248 row_shr:8 row_mask:0xf bank_mask:0xf// 000000023B38: 7E8002FA FF0118F8
	v_mov_b32_dpp v65, v248 row_shl:8 row_mask:0xf bank_mask:0xf// 000000023B40: 7E8202FA FF0108F8
	v_mov_b32_dpp v66, v249 row_shr:8 row_mask:0xf bank_mask:0xf// 000000023B48: 7E8402FA FF0118F9
	v_mov_b32_dpp v67, v249 row_shl:8 row_mask:0xf bank_mask:0xf// 000000023B50: 7E8602FA FF0108F9
	v_mov_b32_e32 v68, v248                                    // 000000023B58: 7E8803F8
	v_mov_b32_e32 v69, v249                                    // 000000023B5C: 7E8A03F9
	v_cndmask_b32_e64 v248, v68, v64, s[42:43]                 // 000000023B60: D10000F8 00AA8144
	v_cndmask_b32_e64 v250, v68, v65, s[78:79]                 // 000000023B68: D10000FA 013A8344
	v_cndmask_b32_e64 v249, v69, v66, s[42:43]                 // 000000023B70: D10000F9 00AA8545
	v_cndmask_b32_e64 v251, v69, v67, s[78:79]                 // 000000023B78: D10000FB 013A8745
	v_mov_b32_dpp v64, v57 row_shr:4 row_mask:0xf bank_mask:0xf// 000000023B80: 7E8002FA FF011439
	v_mov_b32_dpp v65, v57 row_shl:4 row_mask:0xf bank_mask:0xf// 000000023B88: 7E8202FA FF010439
	v_cndmask_b32_e64 v252, v57, v64, s[44:45]                 // 000000023B90: D10000FC 00B28139
	v_cndmask_b32_e64 v253, v65, v57, s[44:45]                 // 000000023B98: D10000FD 00B27341
	v_mov_b32_dpp v64, v252 row_shr:8 row_mask:0xf bank_mask:0xf// 000000023BA0: 7E8002FA FF0118FC
	v_mov_b32_dpp v65, v252 row_shl:8 row_mask:0xf bank_mask:0xf// 000000023BA8: 7E8202FA FF0108FC
	v_mov_b32_dpp v66, v253 row_shr:8 row_mask:0xf bank_mask:0xf// 000000023BB0: 7E8402FA FF0118FD
	v_mov_b32_dpp v67, v253 row_shl:8 row_mask:0xf bank_mask:0xf// 000000023BB8: 7E8602FA FF0108FD
	v_mov_b32_e32 v68, v252                                    // 000000023BC0: 7E8803FC
	v_mov_b32_e32 v69, v253                                    // 000000023BC4: 7E8A03FD
	v_cndmask_b32_e64 v252, v68, v64, s[42:43]                 // 000000023BC8: D10000FC 00AA8144
	v_cndmask_b32_e64 v254, v68, v65, s[78:79]                 // 000000023BD0: D10000FE 013A8344
	v_cndmask_b32_e64 v253, v69, v66, s[42:43]                 // 000000023BD8: D10000FD 00AA8545
	v_cndmask_b32_e64 v255, v69, v67, s[78:79]                 // 000000023BE0: D10000FF 013A8745
	v_mul_f32_e32 v128, v19, v128                              // 000000023BE8: 0B010113
	v_mul_f32_e32 v129, v19, v129                              // 000000023BEC: 0B030313
	v_mul_f32_e32 v130, v19, v130                              // 000000023BF0: 0B050513
	v_mul_f32_e32 v131, v19, v131                              // 000000023BF4: 0B070713
	v_mul_f32_e32 v132, v19, v132                              // 000000023BF8: 0B090913
	v_mul_f32_e32 v133, v19, v133                              // 000000023BFC: 0B0B0B13
	v_mul_f32_e32 v134, v19, v134                              // 000000023C00: 0B0D0D13
	v_mul_f32_e32 v135, v19, v135                              // 000000023C04: 0B0F0F13
	v_mul_f32_e32 v136, v19, v136                              // 000000023C08: 0B111113
	v_mul_f32_e32 v137, v19, v137                              // 000000023C0C: 0B131313
	v_mul_f32_e32 v138, v19, v138                              // 000000023C10: 0B151513
	v_mul_f32_e32 v139, v19, v139                              // 000000023C14: 0B171713
	v_mul_f32_e32 v140, v19, v140                              // 000000023C18: 0B191913
	v_mul_f32_e32 v141, v19, v141                              // 000000023C1C: 0B1B1B13
	v_mul_f32_e32 v142, v19, v142                              // 000000023C20: 0B1D1D13
	v_mul_f32_e32 v143, v19, v143                              // 000000023C24: 0B1F1F13
	v_mul_f32_dpp v128, v248, v128 quad_perm:[0,0,0,0] row_mask:0xf bank_mask:0xf// 000000023C28: 0B0100FA FF0000F8
	v_mul_f32_dpp v129, v248, v129 quad_perm:[1,1,1,1] row_mask:0xf bank_mask:0xf// 000000023C30: 0B0302FA FF0055F8
	v_mul_f32_dpp v130, v248, v130 quad_perm:[2,2,2,2] row_mask:0xf bank_mask:0xf// 000000023C38: 0B0504FA FF00AAF8
	v_mul_f32_dpp v131, v248, v131 quad_perm:[3,3,3,3] row_mask:0xf bank_mask:0xf// 000000023C40: 0B0706FA FF00FFF8
	v_mul_f32_dpp v132, v249, v132 quad_perm:[0,0,0,0] row_mask:0xf bank_mask:0xf// 000000023C48: 0B0908FA FF0000F9
	v_mul_f32_dpp v133, v249, v133 quad_perm:[1,1,1,1] row_mask:0xf bank_mask:0xf// 000000023C50: 0B0B0AFA FF0055F9
	v_mul_f32_dpp v134, v249, v134 quad_perm:[2,2,2,2] row_mask:0xf bank_mask:0xf// 000000023C58: 0B0D0CFA FF00AAF9
	v_mul_f32_dpp v135, v249, v135 quad_perm:[3,3,3,3] row_mask:0xf bank_mask:0xf// 000000023C60: 0B0F0EFA FF00FFF9
	v_mul_f32_dpp v136, v250, v136 quad_perm:[0,0,0,0] row_mask:0xf bank_mask:0xf// 000000023C68: 0B1110FA FF0000FA
	v_mul_f32_dpp v137, v250, v137 quad_perm:[1,1,1,1] row_mask:0xf bank_mask:0xf// 000000023C70: 0B1312FA FF0055FA
	v_mul_f32_dpp v138, v250, v138 quad_perm:[2,2,2,2] row_mask:0xf bank_mask:0xf// 000000023C78: 0B1514FA FF00AAFA
	v_mul_f32_dpp v139, v250, v139 quad_perm:[3,3,3,3] row_mask:0xf bank_mask:0xf// 000000023C80: 0B1716FA FF00FFFA
	v_mul_f32_dpp v140, v251, v140 quad_perm:[0,0,0,0] row_mask:0xf bank_mask:0xf// 000000023C88: 0B1918FA FF0000FB
	v_mul_f32_dpp v141, v251, v141 quad_perm:[1,1,1,1] row_mask:0xf bank_mask:0xf// 000000023C90: 0B1B1AFA FF0055FB
	v_mul_f32_dpp v142, v251, v142 quad_perm:[2,2,2,2] row_mask:0xf bank_mask:0xf// 000000023C98: 0B1D1CFA FF00AAFB
	v_mul_f32_dpp v143, v251, v143 quad_perm:[3,3,3,3] row_mask:0xf bank_mask:0xf// 000000023CA0: 0B1F1EFA FF00FFFB
	s_cmp_le_i32 s90, s89                                      // 000000023CA8: BF05595A
	s_cbranch_scc1 label_871D                                  // 000000023CAC: BF850071
	v_mov_b32_e32 v66, 0xff800000                              // 000000023CB0: 7E8402FF FF800000
	s_mov_b32 s60, s90                                         // 000000023CB8: BEBC005A
	s_add_u32 s61, s89, 0xff                                   // 000000023CBC: 803DFF59 000000FF
	v_mov_b32_e32 v64, s61                                     // 000000023CC4: 7E80023D
	v_lshrrev_b32_e32 v240, 4, v0                              // 000000023CC8: 21E00084
	v_mul_i32_i24_e32 v240, 4, v240                            // 000000023CCC: 0DE1E084
	v_add_u32_e32 v240, s60, v240                              // 000000023CD0: 69E1E03C
	s_mov_b32 s61, 1                                           // 000000023CD4: BEBD0081
	s_mul_i32 s60, 16, s7                                      // 000000023CD8: 923C0790
	v_sub_u32_e64 v240, v240, s61                              // 000000023CDC: D13500F0 00007BF0
	v_add_u32_e32 v240, s60, v240                              // 000000023CE4: 69E1E03C
	v_add_u32_e32 v241, 1, v240                                // 000000023CE8: 69E3E081
	v_add_u32_e32 v242, 2, v240                                // 000000023CEC: 69E5E082
	v_add_u32_e32 v243, 3, v240                                // 000000023CF0: 69E7E083
	v_cmp_le_u32_e64 s[40:41], v240, v64                       // 000000023CF4: D0CB0028 000281F0
	v_add_u32_e32 v240, 64, v240                               // 000000023CFC: 69E1E0C0
	s_nop 0                                                    // 000000023D00: BF800000
	v_cndmask_b32_e64 v128, v66, v128, s[40:41]                // 000000023D04: D1000080 00A30142
	v_cmp_le_u32_e64 s[40:41], v241, v64                       // 000000023D0C: D0CB0028 000281F1
	v_add_u32_e32 v241, 64, v241                               // 000000023D14: 69E3E2C0
	s_nop 0                                                    // 000000023D18: BF800000
	v_cndmask_b32_e64 v129, v66, v129, s[40:41]                // 000000023D1C: D1000081 00A30342
	v_cmp_le_u32_e64 s[40:41], v242, v64                       // 000000023D24: D0CB0028 000281F2
	v_add_u32_e32 v242, 64, v242                               // 000000023D2C: 69E5E4C0
	s_nop 0                                                    // 000000023D30: BF800000
	v_cndmask_b32_e64 v130, v66, v130, s[40:41]                // 000000023D34: D1000082 00A30542
	v_cmp_le_u32_e64 s[40:41], v243, v64                       // 000000023D3C: D0CB0028 000281F3
	v_add_u32_e32 v243, 64, v243                               // 000000023D44: 69E7E6C0
	s_nop 0                                                    // 000000023D48: BF800000
	v_cndmask_b32_e64 v131, v66, v131, s[40:41]                // 000000023D4C: D1000083 00A30742
	v_cmp_le_u32_e64 s[40:41], v240, v64                       // 000000023D54: D0CB0028 000281F0
	v_add_u32_e32 v240, 64, v240                               // 000000023D5C: 69E1E0C0
	s_nop 0                                                    // 000000023D60: BF800000
	v_cndmask_b32_e64 v132, v66, v132, s[40:41]                // 000000023D64: D1000084 00A30942
	v_cmp_le_u32_e64 s[40:41], v241, v64                       // 000000023D6C: D0CB0028 000281F1
	v_add_u32_e32 v241, 64, v241                               // 000000023D74: 69E3E2C0
	s_nop 0                                                    // 000000023D78: BF800000
	v_cndmask_b32_e64 v133, v66, v133, s[40:41]                // 000000023D7C: D1000085 00A30B42
	v_cmp_le_u32_e64 s[40:41], v242, v64                       // 000000023D84: D0CB0028 000281F2
	v_add_u32_e32 v242, 64, v242                               // 000000023D8C: 69E5E4C0
	s_nop 0                                                    // 000000023D90: BF800000
	v_cndmask_b32_e64 v134, v66, v134, s[40:41]                // 000000023D94: D1000086 00A30D42
	v_cmp_le_u32_e64 s[40:41], v243, v64                       // 000000023D9C: D0CB0028 000281F3
	v_add_u32_e32 v243, 64, v243                               // 000000023DA4: 69E7E6C0
	s_nop 0                                                    // 000000023DA8: BF800000
	v_cndmask_b32_e64 v135, v66, v135, s[40:41]                // 000000023DAC: D1000087 00A30F42
	v_cmp_le_u32_e64 s[40:41], v240, v64                       // 000000023DB4: D0CB0028 000281F0
	v_add_u32_e32 v240, 64, v240                               // 000000023DBC: 69E1E0C0
	s_nop 0                                                    // 000000023DC0: BF800000
	v_cndmask_b32_e64 v136, v66, v136, s[40:41]                // 000000023DC4: D1000088 00A31142
	v_cmp_le_u32_e64 s[40:41], v241, v64                       // 000000023DCC: D0CB0028 000281F1
	v_add_u32_e32 v241, 64, v241                               // 000000023DD4: 69E3E2C0
	s_nop 0                                                    // 000000023DD8: BF800000
	v_cndmask_b32_e64 v137, v66, v137, s[40:41]                // 000000023DDC: D1000089 00A31342
	v_cmp_le_u32_e64 s[40:41], v242, v64                       // 000000023DE4: D0CB0028 000281F2
	v_add_u32_e32 v242, 64, v242                               // 000000023DEC: 69E5E4C0
	s_nop 0                                                    // 000000023DF0: BF800000
	v_cndmask_b32_e64 v138, v66, v138, s[40:41]                // 000000023DF4: D100008A 00A31542
	v_cmp_le_u32_e64 s[40:41], v243, v64                       // 000000023DFC: D0CB0028 000281F3
	v_add_u32_e32 v243, 64, v243                               // 000000023E04: 69E7E6C0
	s_nop 0                                                    // 000000023E08: BF800000
	v_cndmask_b32_e64 v139, v66, v139, s[40:41]                // 000000023E0C: D100008B 00A31742
	v_cmp_le_u32_e64 s[40:41], v240, v64                       // 000000023E14: D0CB0028 000281F0
	v_add_u32_e32 v240, 64, v240                               // 000000023E1C: 69E1E0C0
	s_nop 0                                                    // 000000023E20: BF800000
	v_cndmask_b32_e64 v140, v66, v140, s[40:41]                // 000000023E24: D100008C 00A31942
	v_cmp_le_u32_e64 s[40:41], v241, v64                       // 000000023E2C: D0CB0028 000281F1
	v_add_u32_e32 v241, 64, v241                               // 000000023E34: 69E3E2C0
	s_nop 0                                                    // 000000023E38: BF800000
	v_cndmask_b32_e64 v141, v66, v141, s[40:41]                // 000000023E3C: D100008D 00A31B42
	v_cmp_le_u32_e64 s[40:41], v242, v64                       // 000000023E44: D0CB0028 000281F2
	v_add_u32_e32 v242, 64, v242                               // 000000023E4C: 69E5E4C0
	s_nop 0                                                    // 000000023E50: BF800000
	v_cndmask_b32_e64 v142, v66, v142, s[40:41]                // 000000023E54: D100008E 00A31D42
	v_cmp_le_u32_e64 s[40:41], v243, v64                       // 000000023E5C: D0CB0028 000281F3
	v_add_u32_e32 v243, 64, v243                               // 000000023E64: 69E7E6C0
	s_nop 0                                                    // 000000023E68: BF800000
	v_cndmask_b32_e64 v143, v66, v143, s[40:41]                // 000000023E6C: D100008F 00A31F42

0000000000023e74 <label_871D>:
	v_mov_b32_e32 v48, v128                                    // 000000023E74: 7E600380
	v_max3_f32 v48, v128, v129, v48                            // 000000023E78: D1D30030 04C30380
	v_max3_f32 v48, v130, v131, v48                            // 000000023E80: D1D30030 04C30782
	v_max3_f32 v48, v132, v133, v48                            // 000000023E88: D1D30030 04C30B84
	v_max3_f32 v48, v134, v135, v48                            // 000000023E90: D1D30030 04C30F86
	v_max3_f32 v48, v136, v137, v48                            // 000000023E98: D1D30030 04C31388
	v_max3_f32 v48, v138, v139, v48                            // 000000023EA0: D1D30030 04C3178A
	v_max3_f32 v48, v140, v141, v48                            // 000000023EA8: D1D30030 04C31B8C
	v_max3_f32 v48, v142, v143, v48                            // 000000023EB0: D1D30030 04C31F8E
	ds_write_b32 v8, v48 offset:16896                          // 000000023EB8: D81A4200 00003008
	v_mul_f32_e32 v216, v50, v216                              // 000000023EC0: 0BB1B132
	v_mul_f32_e32 v217, v50, v217                              // 000000023EC4: 0BB3B332
	v_mul_f32_e32 v218, v50, v218                              // 000000023EC8: 0BB5B532
	v_mul_f32_e32 v219, v50, v219                              // 000000023ECC: 0BB7B732
	v_mul_f32_e32 v220, v50, v220                              // 000000023ED0: 0BB9B932
	v_mul_f32_e32 v221, v50, v221                              // 000000023ED4: 0BBBBB32
	v_mul_f32_e32 v222, v50, v222                              // 000000023ED8: 0BBDBD32
	v_mul_f32_e32 v223, v50, v223                              // 000000023EDC: 0BBFBF32
	s_waitcnt lgkmcnt(0)                                       // 000000023EE0: BF8CC07F
	s_barrier                                                  // 000000023EE4: BF8A0000
	ds_read_b32 v64, v7 offset:16896                           // 000000023EE8: D86C4200 40000007
	ds_read_b32 v65, v7 offset:16960                           // 000000023EF0: D86C4240 41000007
	ds_read_b32 v66, v7 offset:17024                           // 000000023EF8: D86C4280 42000007
	ds_read_b32 v67, v7 offset:17088                           // 000000023F00: D86C42C0 43000007
	ds_read_b32 v68, v7 offset:17152                           // 000000023F08: D86C4300 44000007
	ds_read_b32 v69, v7 offset:17216                           // 000000023F10: D86C4340 45000007
	ds_read_b32 v70, v7 offset:17280                           // 000000023F18: D86C4380 46000007
	ds_read_b32 v71, v7 offset:17344                           // 000000023F20: D86C43C0 47000007
	ds_read_b32 v72, v7 offset:17408                           // 000000023F28: D86C4400 48000007
	ds_read_b32 v73, v7 offset:17472                           // 000000023F30: D86C4440 49000007
	ds_read_b32 v74, v7 offset:17536                           // 000000023F38: D86C4480 4A000007
	ds_read_b32 v75, v7 offset:17600                           // 000000023F40: D86C44C0 4B000007
	ds_read_b32 v76, v7 offset:17664                           // 000000023F48: D86C4500 4C000007
	ds_read_b32 v77, v7 offset:17728                           // 000000023F50: D86C4540 4D000007
	ds_read_b32 v78, v7 offset:17792                           // 000000023F58: D86C4580 4E000007
	ds_read_b32 v79, v7 offset:17856                           // 000000023F60: D86C45C0 4F000007
	v_mul_f32_e32 v184, v45, v184                              // 000000023F68: 0B71712D
	v_mul_f32_e32 v185, v45, v185                              // 000000023F6C: 0B73732D
	v_mul_f32_e32 v186, v45, v186                              // 000000023F70: 0B75752D
	v_mul_f32_e32 v187, v45, v187                              // 000000023F74: 0B77772D
	v_mul_f32_e32 v188, v45, v188                              // 000000023F78: 0B79792D
	v_mul_f32_e32 v189, v45, v189                              // 000000023F7C: 0B7B7B2D
	v_mul_f32_e32 v190, v45, v190                              // 000000023F80: 0B7D7D2D
	v_mul_f32_e32 v191, v45, v191                              // 000000023F84: 0B7F7F2D
	s_waitcnt lgkmcnt(0)                                       // 000000023F88: BF8CC07F
	v_max3_f32 v48, v64, v65, v48                              // 000000023F8C: D1D30030 04C28340
	v_max3_f32 v48, v66, v67, v48                              // 000000023F94: D1D30030 04C28742
	v_max3_f32 v48, v68, v69, v48                              // 000000023F9C: D1D30030 04C28B44
	v_max3_f32 v48, v70, v71, v48                              // 000000023FA4: D1D30030 04C28F46
	v_max3_f32 v48, v72, v73, v48                              // 000000023FAC: D1D30030 04C29348
	v_max3_f32 v48, v74, v75, v48                              // 000000023FB4: D1D30030 04C2974A
	v_max3_f32 v48, v76, v77, v48                              // 000000023FBC: D1D30030 04C29B4C
	v_max3_f32 v48, v78, v79, v48                              // 000000023FC4: D1D30030 04C29F4E
	v_mov_b32_e32 v64, 0xff800000                              // 000000023FCC: 7E8002FF FF800000
	v_cmp_eq_u32_e64 s[40:41], v64, v12                        // 000000023FD4: D0CA0028 00021940
	s_nop 1                                                    // 000000023FDC: BF800001
	v_max_f32_e32 v15, v48, v12                                // 000000023FE0: 161E1930
	v_mul_f32_e32 v53, s64, v15                                // 000000023FE4: 0A6A1E40
	v_fma_f32 v128, v128, s64, -v53                            // 000000023FE8: D1CB0080 84D48180
	v_fma_f32 v129, v129, s64, -v53                            // 000000023FF0: D1CB0081 84D48181
	v_fma_f32 v130, v130, s64, -v53                            // 000000023FF8: D1CB0082 84D48182
	v_fma_f32 v131, v131, s64, -v53                            // 000000024000: D1CB0083 84D48183
	v_fma_f32 v132, v132, s64, -v53                            // 000000024008: D1CB0084 84D48184
	v_fma_f32 v133, v133, s64, -v53                            // 000000024010: D1CB0085 84D48185
	v_fma_f32 v134, v134, s64, -v53                            // 000000024018: D1CB0086 84D48186
	v_fma_f32 v135, v135, s64, -v53                            // 000000024020: D1CB0087 84D48187
	v_fma_f32 v136, v136, s64, -v53                            // 000000024028: D1CB0088 84D48188
	v_fma_f32 v137, v137, s64, -v53                            // 000000024030: D1CB0089 84D48189
	v_fma_f32 v138, v138, s64, -v53                            // 000000024038: D1CB008A 84D4818A
	v_fma_f32 v139, v139, s64, -v53                            // 000000024040: D1CB008B 84D4818B
	v_fma_f32 v140, v140, s64, -v53                            // 000000024048: D1CB008C 84D4818C
	v_fma_f32 v141, v141, s64, -v53                            // 000000024050: D1CB008D 84D4818D
	v_fma_f32 v142, v142, s64, -v53                            // 000000024058: D1CB008E 84D4818E
	v_fma_f32 v143, v143, s64, -v53                            // 000000024060: D1CB008F 84D4818F
	v_exp_f32_e32 v128, v128                                   // 000000024068: 7F004180
	v_exp_f32_e32 v129, v129                                   // 00000002406C: 7F024181
	v_exp_f32_e32 v130, v130                                   // 000000024070: 7F044182
	v_exp_f32_e32 v131, v131                                   // 000000024074: 7F064183
	v_exp_f32_e32 v132, v132                                   // 000000024078: 7F084184
	v_exp_f32_e32 v133, v133                                   // 00000002407C: 7F0A4185
	v_exp_f32_e32 v134, v134                                   // 000000024080: 7F0C4186
	v_exp_f32_e32 v135, v135                                   // 000000024084: 7F0E4187
	v_exp_f32_e32 v136, v136                                   // 000000024088: 7F104188
	v_exp_f32_e32 v137, v137                                   // 00000002408C: 7F124189
	v_exp_f32_e32 v138, v138                                   // 000000024090: 7F14418A
	v_exp_f32_e32 v139, v139                                   // 000000024094: 7F16418B
	v_exp_f32_e32 v140, v140                                   // 000000024098: 7F18418C
	v_exp_f32_e32 v141, v141                                   // 00000002409C: 7F1A418D
	v_exp_f32_e32 v142, v142                                   // 0000000240A0: 7F1C418E
	v_exp_f32_e32 v143, v143                                   // 0000000240A4: 7F1E418F
	v_mul_f32_dpp v240, v252, v128 quad_perm:[0,0,0,0] row_mask:0xf bank_mask:0xf// 0000000240A8: 0BE100FA FF0000FC
	v_mul_f32_dpp v241, v252, v129 quad_perm:[1,1,1,1] row_mask:0xf bank_mask:0xf// 0000000240B0: 0BE302FA FF0055FC
	v_mul_f32_dpp v242, v252, v130 quad_perm:[2,2,2,2] row_mask:0xf bank_mask:0xf// 0000000240B8: 0BE504FA FF00AAFC
	v_mul_f32_dpp v243, v252, v131 quad_perm:[3,3,3,3] row_mask:0xf bank_mask:0xf// 0000000240C0: 0BE706FA FF00FFFC
	v_mul_f32_dpp v244, v253, v132 quad_perm:[0,0,0,0] row_mask:0xf bank_mask:0xf// 0000000240C8: 0BE908FA FF0000FD
	v_mul_f32_dpp v245, v253, v133 quad_perm:[1,1,1,1] row_mask:0xf bank_mask:0xf// 0000000240D0: 0BEB0AFA FF0055FD
	v_mul_f32_dpp v246, v253, v134 quad_perm:[2,2,2,2] row_mask:0xf bank_mask:0xf// 0000000240D8: 0BED0CFA FF00AAFD
	v_mul_f32_dpp v247, v253, v135 quad_perm:[3,3,3,3] row_mask:0xf bank_mask:0xf// 0000000240E0: 0BEF0EFA FF00FFFD
	v_mul_f32_dpp v248, v254, v136 quad_perm:[0,0,0,0] row_mask:0xf bank_mask:0xf// 0000000240E8: 0BF110FA FF0000FE
	v_mul_f32_dpp v249, v254, v137 quad_perm:[1,1,1,1] row_mask:0xf bank_mask:0xf// 0000000240F0: 0BF312FA FF0055FE
	v_mul_f32_dpp v250, v254, v138 quad_perm:[2,2,2,2] row_mask:0xf bank_mask:0xf// 0000000240F8: 0BF514FA FF00AAFE
	v_mul_f32_dpp v251, v254, v139 quad_perm:[3,3,3,3] row_mask:0xf bank_mask:0xf// 000000024100: 0BF716FA FF00FFFE
	v_mul_f32_dpp v252, v255, v140 quad_perm:[0,0,0,0] row_mask:0xf bank_mask:0xf// 000000024108: 0BF918FA FF0000FF
	v_mul_f32_dpp v253, v255, v141 quad_perm:[1,1,1,1] row_mask:0xf bank_mask:0xf// 000000024110: 0BFB1AFA FF0055FF
	v_mul_f32_dpp v254, v255, v142 quad_perm:[2,2,2,2] row_mask:0xf bank_mask:0xf// 000000024118: 0BFD1CFA FF00AAFF
	v_mul_f32_dpp v255, v255, v143 quad_perm:[3,3,3,3] row_mask:0xf bank_mask:0xf// 000000024120: 0BFF1EFA FF00FFFF
	v_mov_b32_e32 v48, 0x358637bd                              // 000000024128: 7E6002FF 358637BD
	v_max3_f32 v48, |v240|, |v241|, v48                        // 000000024130: D1D30330 04C3E3F0
	v_max3_f32 v48, |v242|, |v243|, v48                        // 000000024138: D1D30330 04C3E7F2
	v_max3_f32 v48, |v244|, |v245|, v48                        // 000000024140: D1D30330 04C3EBF4
	v_max3_f32 v48, |v246|, |v247|, v48                        // 000000024148: D1D30330 04C3EFF6
	v_max3_f32 v48, |v248|, |v249|, v48                        // 000000024150: D1D30330 04C3F3F8
	v_max3_f32 v48, |v250|, |v251|, v48                        // 000000024158: D1D30330 04C3F7FA
	v_max3_f32 v48, |v252|, |v253|, v48                        // 000000024160: D1D30330 04C3FBFC
	v_max3_f32 v48, |v254|, |v255|, v48                        // 000000024168: D1D30330 04C3FFFE
	ds_write_b32 v8, v48 offset:20992                          // 000000024170: D81A5200 00003008
	v_sub_f32_e32 v50, v12, v15                                // 000000024178: 04641F0C
	v_cndmask_b32_e64 v50, v50, 0, s[40:41]                    // 00000002417C: D1000032 00A10132
	v_mov_b32_e32 v12, v15                                     // 000000024184: 7E18030F
	v_mul_f32_e32 v50, s64, v50                                // 000000024188: 0A646440
	v_exp_f32_e32 v50, v50                                     // 00000002418C: 7E644132
	s_waitcnt lgkmcnt(0)                                       // 000000024190: BF8CC07F
	s_barrier                                                  // 000000024194: BF8A0000
	ds_read_b32 v64, v7 offset:20992                           // 000000024198: D86C5200 40000007
	ds_read_b32 v65, v7 offset:21056                           // 0000000241A0: D86C5240 41000007
	ds_read_b32 v66, v7 offset:21120                           // 0000000241A8: D86C5280 42000007
	ds_read_b32 v67, v7 offset:21184                           // 0000000241B0: D86C52C0 43000007
	ds_read_b32 v68, v7 offset:21248                           // 0000000241B8: D86C5300 44000007
	ds_read_b32 v69, v7 offset:21312                           // 0000000241C0: D86C5340 45000007
	ds_read_b32 v70, v7 offset:21376                           // 0000000241C8: D86C5380 46000007
	ds_read_b32 v71, v7 offset:21440                           // 0000000241D0: D86C53C0 47000007
	ds_read_b32 v72, v7 offset:21504                           // 0000000241D8: D86C5400 48000007
	ds_read_b32 v73, v7 offset:21568                           // 0000000241E0: D86C5440 49000007
	ds_read_b32 v74, v7 offset:21632                           // 0000000241E8: D86C5480 4A000007
	ds_read_b32 v75, v7 offset:21696                           // 0000000241F0: D86C54C0 4B000007
	ds_read_b32 v76, v7 offset:21760                           // 0000000241F8: D86C5500 4C000007
	ds_read_b32 v77, v7 offset:21824                           // 000000024200: D86C5540 4D000007
	ds_read_b32 v78, v7 offset:21888                           // 000000024208: D86C5580 4E000007
	ds_read_b32 v79, v7 offset:21952                           // 000000024210: D86C55C0 4F000007
	v_mul_f32_e32 v39, v50, v39                                // 000000024218: 0A4E4F32
	v_mov_b32_e32 v15, v128                                    // 00000002421C: 7E1E0380
	v_add_f32_e32 v15, v129, v15                               // 000000024220: 021E1F81
	v_add_f32_e32 v15, v130, v15                               // 000000024224: 021E1F82
	v_add_f32_e32 v15, v131, v15                               // 000000024228: 021E1F83
	v_add_f32_e32 v15, v132, v15                               // 00000002422C: 021E1F84
	v_add_f32_e32 v15, v133, v15                               // 000000024230: 021E1F85
	v_add_f32_e32 v15, v134, v15                               // 000000024234: 021E1F86
	v_add_f32_e32 v15, v135, v15                               // 000000024238: 021E1F87
	v_add_f32_e32 v15, v136, v15                               // 00000002423C: 021E1F88
	v_add_f32_e32 v15, v137, v15                               // 000000024240: 021E1F89
	v_add_f32_e32 v15, v138, v15                               // 000000024244: 021E1F8A
	v_add_f32_e32 v15, v139, v15                               // 000000024248: 021E1F8B
	v_add_f32_e32 v15, v140, v15                               // 00000002424C: 021E1F8C
	v_add_f32_e32 v15, v141, v15                               // 000000024250: 021E1F8D
	v_add_f32_e32 v15, v142, v15                               // 000000024254: 021E1F8E
	v_add_f32_e32 v15, v143, v15                               // 000000024258: 021E1F8F
	v_add_f32_e32 v39, v15, v39                                // 00000002425C: 024E4F0F
	s_waitcnt lgkmcnt(0)                                       // 000000024260: BF8CC07F
	v_max3_f32 v48, |v64|, |v65|, v48                          // 000000024264: D1D30330 04C28340
	v_max3_f32 v48, |v66|, |v67|, v48                          // 00000002426C: D1D30330 04C28742
	v_max3_f32 v48, |v68|, |v69|, v48                          // 000000024274: D1D30330 04C28B44
	v_max3_f32 v48, |v70|, |v71|, v48                          // 00000002427C: D1D30330 04C28F46
	v_max3_f32 v48, |v72|, |v73|, v48                          // 000000024284: D1D30330 04C29348
	v_max3_f32 v48, |v74|, |v75|, v48                          // 00000002428C: D1D30330 04C2974A
	v_max3_f32 v48, |v76|, |v77|, v48                          // 000000024294: D1D30330 04C29B4C
	v_max3_f32 v48, |v78|, |v79|, v48                          // 00000002429C: D1D30330 04C29F4E
	s_nop 2                                                    // 0000000242A4: BF800002
	v_rcp_f32_e32 v48, v48                                     // 0000000242A8: 7E604530
	s_nop 1                                                    // 0000000242AC: BF800001
	v_mul_f32_e32 v48, 0x43e00000, v48                         // 0000000242B0: 0A6060FF 43E00000
	v_mul_f32_e32 v128, v48, v240                              // 0000000242B8: 0B01E130
	v_mul_f32_e32 v129, v48, v241                              // 0000000242BC: 0B03E330
	v_mul_f32_e32 v130, v48, v242                              // 0000000242C0: 0B05E530
	v_mul_f32_e32 v131, v48, v243                              // 0000000242C4: 0B07E730
	v_mul_f32_e32 v132, v48, v244                              // 0000000242C8: 0B09E930
	v_mul_f32_e32 v133, v48, v245                              // 0000000242CC: 0B0BEB30
	v_mul_f32_e32 v134, v48, v246                              // 0000000242D0: 0B0DED30
	v_mul_f32_e32 v135, v48, v247                              // 0000000242D4: 0B0FEF30
	v_mul_f32_e32 v136, v48, v248                              // 0000000242D8: 0B11F130
	v_mul_f32_e32 v137, v48, v249                              // 0000000242DC: 0B13F330
	v_mul_f32_e32 v138, v48, v250                              // 0000000242E0: 0B15F530
	v_mul_f32_e32 v139, v48, v251                              // 0000000242E4: 0B17F730
	v_mul_f32_e32 v140, v48, v252                              // 0000000242E8: 0B19F930
	v_mul_f32_e32 v141, v48, v253                              // 0000000242EC: 0B1BFB30
	v_mul_f32_e32 v142, v48, v254                              // 0000000242F0: 0B1DFD30
	v_mul_f32_e32 v143, v48, v255                              // 0000000242F4: 0B1FFF30
	v_cvt_pk_fp8_f32 v128, v128, v129                          // 0000000242F8: D2A20080 00030380
	v_cvt_pk_fp8_f32 v128, v130, v131 op_sel:[0,0,1]           // 000000024300: D2A24080 00030782
	v_cvt_pk_fp8_f32 v129, v132, v133                          // 000000024308: D2A20081 00030B84
	v_cvt_pk_fp8_f32 v129, v134, v135 op_sel:[0,0,1]           // 000000024310: D2A24081 00030F86
	v_cvt_pk_fp8_f32 v130, v136, v137                          // 000000024318: D2A20082 00031388
	v_cvt_pk_fp8_f32 v130, v138, v139 op_sel:[0,0,1]           // 000000024320: D2A24082 0003178A
	v_cvt_pk_fp8_f32 v131, v140, v141                          // 000000024328: D2A20083 00031B8C
	v_cvt_pk_fp8_f32 v131, v142, v143 op_sel:[0,0,1]           // 000000024330: D2A24083 00031F8E
	ds_write_b32 v10, v128 offset:29184                        // 000000024338: D81A7200 0000800A
	ds_write_b32 v10, v129 offset:30208                        // 000000024340: D81A7600 0000810A
	ds_write_b32 v10, v130 offset:31232                        // 000000024348: D81A7A00 0000820A
	ds_write_b32 v10, v131 offset:32256                        // 000000024350: D81A7E00 0000830A
	v_add_f32_e32 v216, v216, v184                             // 000000024358: 03B171D8
	v_add_f32_e32 v217, v217, v185                             // 00000002435C: 03B373D9
	v_add_f32_e32 v218, v218, v186                             // 000000024360: 03B575DA
	v_add_f32_e32 v219, v219, v187                             // 000000024364: 03B777DB
	v_add_f32_e32 v220, v220, v188                             // 000000024368: 03B979DC
	v_add_f32_e32 v221, v221, v189                             // 00000002436C: 03BB7BDD
	v_add_f32_e32 v222, v222, v190                             // 000000024370: 03BD7DDE
	v_add_f32_e32 v223, v223, v191                             // 000000024374: 03BF7FDF
	v_rcp_f32_e32 v45, v48                                     // 000000024378: 7E5A4530
	s_waitcnt lgkmcnt(0)                                       // 00000002437C: BF8CC07F
	s_barrier                                                  // 000000024380: BF8A0000
	ds_read_b64 v[128:129], v9 offset:29184                    // 000000024384: D8EC7200 80000009
	ds_read_b64 v[130:131], v9 offset:29312                    // 00000002438C: D8EC7280 82000009
	ds_read_b64 v[132:133], v9 offset:30208                    // 000000024394: D8EC7600 84000009
	ds_read_b64 v[134:135], v9 offset:30336                    // 00000002439C: D8EC7680 86000009
	ds_read_b64 v[136:137], v9 offset:31232                    // 0000000243A4: D8EC7A00 88000009
	ds_read_b64 v[138:139], v9 offset:31360                    // 0000000243AC: D8EC7A80 8A000009
	ds_read_b64 v[140:141], v9 offset:32256                    // 0000000243B4: D8EC7E00 8C000009
	ds_read_b64 v[142:143], v9 offset:32384                    // 0000000243BC: D8EC7E80 8E000009
	v_mov_b32_dpp v64, v42 row_shr:4 row_mask:0xf bank_mask:0xf// 0000000243C4: 7E8002FA FF01142A
	v_mov_b32_dpp v65, v42 row_shl:4 row_mask:0xf bank_mask:0xf// 0000000243CC: 7E8202FA FF01042A
	v_cndmask_b32_e64 v248, v42, v64, s[44:45]                 // 0000000243D4: D10000F8 00B2812A
	v_cndmask_b32_e64 v249, v65, v42, s[44:45]                 // 0000000243DC: D10000F9 00B25541
	v_mov_b32_dpp v64, v248 row_shr:8 row_mask:0xf bank_mask:0xf// 0000000243E4: 7E8002FA FF0118F8
	v_mov_b32_dpp v65, v248 row_shl:8 row_mask:0xf bank_mask:0xf// 0000000243EC: 7E8202FA FF0108F8
	v_mov_b32_dpp v66, v249 row_shr:8 row_mask:0xf bank_mask:0xf// 0000000243F4: 7E8402FA FF0118F9
	v_mov_b32_dpp v67, v249 row_shl:8 row_mask:0xf bank_mask:0xf// 0000000243FC: 7E8602FA FF0108F9
	v_mov_b32_e32 v68, v248                                    // 000000024404: 7E8803F8
	v_mov_b32_e32 v69, v249                                    // 000000024408: 7E8A03F9
	v_cndmask_b32_e64 v248, v68, v64, s[42:43]                 // 00000002440C: D10000F8 00AA8144
	v_cndmask_b32_e64 v250, v68, v65, s[78:79]                 // 000000024414: D10000FA 013A8344
	v_cndmask_b32_e64 v249, v69, v66, s[42:43]                 // 00000002441C: D10000F9 00AA8545
	v_cndmask_b32_e64 v251, v69, v67, s[78:79]                 // 000000024424: D10000FB 013A8745
	v_mov_b32_dpp v64, v57 row_shr:4 row_mask:0xf bank_mask:0xf// 00000002442C: 7E8002FA FF011439
	v_mov_b32_dpp v65, v57 row_shl:4 row_mask:0xf bank_mask:0xf// 000000024434: 7E8202FA FF010439
	v_cndmask_b32_e64 v252, v57, v64, s[44:45]                 // 00000002443C: D10000FC 00B28139
	v_cndmask_b32_e64 v253, v65, v57, s[44:45]                 // 000000024444: D10000FD 00B27341
	v_mov_b32_dpp v64, v252 row_shr:8 row_mask:0xf bank_mask:0xf// 00000002444C: 7E8002FA FF0118FC
	v_mov_b32_dpp v65, v252 row_shl:8 row_mask:0xf bank_mask:0xf// 000000024454: 7E8202FA FF0108FC
	v_mov_b32_dpp v66, v253 row_shr:8 row_mask:0xf bank_mask:0xf// 00000002445C: 7E8402FA FF0118FD
	v_mov_b32_dpp v67, v253 row_shl:8 row_mask:0xf bank_mask:0xf// 000000024464: 7E8602FA FF0108FD
	v_mov_b32_e32 v68, v252                                    // 00000002446C: 7E8803FC
	v_mov_b32_e32 v69, v253                                    // 000000024470: 7E8A03FD
	v_cndmask_b32_e64 v252, v68, v64, s[42:43]                 // 000000024474: D10000FC 00AA8144
	v_cndmask_b32_e64 v254, v68, v65, s[78:79]                 // 00000002447C: D10000FE 013A8344
	v_cndmask_b32_e64 v253, v69, v66, s[42:43]                 // 000000024484: D10000FD 00AA8545
	v_cndmask_b32_e64 v255, v69, v67, s[78:79]                 // 00000002448C: D10000FF 013A8745
	v_mul_f32_e32 v144, v20, v144                              // 000000024494: 0B212114
	v_mul_f32_e32 v145, v20, v145                              // 000000024498: 0B232314
	v_mul_f32_e32 v146, v20, v146                              // 00000002449C: 0B252514
	v_mul_f32_e32 v147, v20, v147                              // 0000000244A0: 0B272714
	v_mul_f32_e32 v148, v20, v148                              // 0000000244A4: 0B292914
	v_mul_f32_e32 v149, v20, v149                              // 0000000244A8: 0B2B2B14
	v_mul_f32_e32 v150, v20, v150                              // 0000000244AC: 0B2D2D14
	v_mul_f32_e32 v151, v20, v151                              // 0000000244B0: 0B2F2F14
	v_mul_f32_e32 v152, v20, v152                              // 0000000244B4: 0B313114
	v_mul_f32_e32 v153, v20, v153                              // 0000000244B8: 0B333314
	v_mul_f32_e32 v154, v20, v154                              // 0000000244BC: 0B353514
	v_mul_f32_e32 v155, v20, v155                              // 0000000244C0: 0B373714
	v_mul_f32_e32 v156, v20, v156                              // 0000000244C4: 0B393914
	v_mul_f32_e32 v157, v20, v157                              // 0000000244C8: 0B3B3B14
	v_mul_f32_e32 v158, v20, v158                              // 0000000244CC: 0B3D3D14
	v_mul_f32_e32 v159, v20, v159                              // 0000000244D0: 0B3F3F14
	v_mul_f32_dpp v144, v248, v144 quad_perm:[0,0,0,0] row_mask:0xf bank_mask:0xf// 0000000244D4: 0B2120FA FF0000F8
	v_mul_f32_dpp v145, v248, v145 quad_perm:[1,1,1,1] row_mask:0xf bank_mask:0xf// 0000000244DC: 0B2322FA FF0055F8
	v_mul_f32_dpp v146, v248, v146 quad_perm:[2,2,2,2] row_mask:0xf bank_mask:0xf// 0000000244E4: 0B2524FA FF00AAF8
	v_mul_f32_dpp v147, v248, v147 quad_perm:[3,3,3,3] row_mask:0xf bank_mask:0xf// 0000000244EC: 0B2726FA FF00FFF8
	v_mul_f32_dpp v148, v249, v148 quad_perm:[0,0,0,0] row_mask:0xf bank_mask:0xf// 0000000244F4: 0B2928FA FF0000F9
	v_mul_f32_dpp v149, v249, v149 quad_perm:[1,1,1,1] row_mask:0xf bank_mask:0xf// 0000000244FC: 0B2B2AFA FF0055F9
	v_mul_f32_dpp v150, v249, v150 quad_perm:[2,2,2,2] row_mask:0xf bank_mask:0xf// 000000024504: 0B2D2CFA FF00AAF9
	v_mul_f32_dpp v151, v249, v151 quad_perm:[3,3,3,3] row_mask:0xf bank_mask:0xf// 00000002450C: 0B2F2EFA FF00FFF9
	v_mul_f32_dpp v152, v250, v152 quad_perm:[0,0,0,0] row_mask:0xf bank_mask:0xf// 000000024514: 0B3130FA FF0000FA
	v_mul_f32_dpp v153, v250, v153 quad_perm:[1,1,1,1] row_mask:0xf bank_mask:0xf// 00000002451C: 0B3332FA FF0055FA
	v_mul_f32_dpp v154, v250, v154 quad_perm:[2,2,2,2] row_mask:0xf bank_mask:0xf// 000000024524: 0B3534FA FF00AAFA
	v_mul_f32_dpp v155, v250, v155 quad_perm:[3,3,3,3] row_mask:0xf bank_mask:0xf// 00000002452C: 0B3736FA FF00FFFA
	v_mul_f32_dpp v156, v251, v156 quad_perm:[0,0,0,0] row_mask:0xf bank_mask:0xf// 000000024534: 0B3938FA FF0000FB
	v_mul_f32_dpp v157, v251, v157 quad_perm:[1,1,1,1] row_mask:0xf bank_mask:0xf// 00000002453C: 0B3B3AFA FF0055FB
	v_mul_f32_dpp v158, v251, v158 quad_perm:[2,2,2,2] row_mask:0xf bank_mask:0xf// 000000024544: 0B3D3CFA FF00AAFB
	v_mul_f32_dpp v159, v251, v159 quad_perm:[3,3,3,3] row_mask:0xf bank_mask:0xf// 00000002454C: 0B3F3EFA FF00FFFB
	s_cmp_le_i32 s90, s89                                      // 000000024554: BF05595A
	s_cbranch_scc1 label_8948                                  // 000000024558: BF850071
	v_mov_b32_e32 v66, 0xff800000                              // 00000002455C: 7E8402FF FF800000
	s_mov_b32 s60, s90                                         // 000000024564: BEBC005A
	s_add_u32 s61, s89, 0xff                                   // 000000024568: 803DFF59 000000FF
	v_mov_b32_e32 v64, s61                                     // 000000024570: 7E80023D
	v_lshrrev_b32_e32 v240, 4, v0                              // 000000024574: 21E00084
	v_mul_i32_i24_e32 v240, 4, v240                            // 000000024578: 0DE1E084
	v_add_u32_e32 v240, s60, v240                              // 00000002457C: 69E1E03C
	s_mov_b32 s61, 2                                           // 000000024580: BEBD0082
	s_mul_i32 s60, 16, s7                                      // 000000024584: 923C0790
	v_sub_u32_e64 v240, v240, s61                              // 000000024588: D13500F0 00007BF0
	v_add_u32_e32 v240, s60, v240                              // 000000024590: 69E1E03C
	v_add_u32_e32 v241, 1, v240                                // 000000024594: 69E3E081
	v_add_u32_e32 v242, 2, v240                                // 000000024598: 69E5E082
	v_add_u32_e32 v243, 3, v240                                // 00000002459C: 69E7E083
	v_cmp_le_u32_e64 s[40:41], v240, v64                       // 0000000245A0: D0CB0028 000281F0
	v_add_u32_e32 v240, 64, v240                               // 0000000245A8: 69E1E0C0
	s_nop 0                                                    // 0000000245AC: BF800000
	v_cndmask_b32_e64 v144, v66, v144, s[40:41]                // 0000000245B0: D1000090 00A32142
	v_cmp_le_u32_e64 s[40:41], v241, v64                       // 0000000245B8: D0CB0028 000281F1
	v_add_u32_e32 v241, 64, v241                               // 0000000245C0: 69E3E2C0
	s_nop 0                                                    // 0000000245C4: BF800000
	v_cndmask_b32_e64 v145, v66, v145, s[40:41]                // 0000000245C8: D1000091 00A32342
	v_cmp_le_u32_e64 s[40:41], v242, v64                       // 0000000245D0: D0CB0028 000281F2
	v_add_u32_e32 v242, 64, v242                               // 0000000245D8: 69E5E4C0
	s_nop 0                                                    // 0000000245DC: BF800000
	v_cndmask_b32_e64 v146, v66, v146, s[40:41]                // 0000000245E0: D1000092 00A32542
	v_cmp_le_u32_e64 s[40:41], v243, v64                       // 0000000245E8: D0CB0028 000281F3
	v_add_u32_e32 v243, 64, v243                               // 0000000245F0: 69E7E6C0
	s_nop 0                                                    // 0000000245F4: BF800000
	v_cndmask_b32_e64 v147, v66, v147, s[40:41]                // 0000000245F8: D1000093 00A32742
	v_cmp_le_u32_e64 s[40:41], v240, v64                       // 000000024600: D0CB0028 000281F0
	v_add_u32_e32 v240, 64, v240                               // 000000024608: 69E1E0C0
	s_nop 0                                                    // 00000002460C: BF800000
	v_cndmask_b32_e64 v148, v66, v148, s[40:41]                // 000000024610: D1000094 00A32942
	v_cmp_le_u32_e64 s[40:41], v241, v64                       // 000000024618: D0CB0028 000281F1
	v_add_u32_e32 v241, 64, v241                               // 000000024620: 69E3E2C0
	s_nop 0                                                    // 000000024624: BF800000
	v_cndmask_b32_e64 v149, v66, v149, s[40:41]                // 000000024628: D1000095 00A32B42
	v_cmp_le_u32_e64 s[40:41], v242, v64                       // 000000024630: D0CB0028 000281F2
	v_add_u32_e32 v242, 64, v242                               // 000000024638: 69E5E4C0
	s_nop 0                                                    // 00000002463C: BF800000
	v_cndmask_b32_e64 v150, v66, v150, s[40:41]                // 000000024640: D1000096 00A32D42
	v_cmp_le_u32_e64 s[40:41], v243, v64                       // 000000024648: D0CB0028 000281F3
	v_add_u32_e32 v243, 64, v243                               // 000000024650: 69E7E6C0
	s_nop 0                                                    // 000000024654: BF800000
	v_cndmask_b32_e64 v151, v66, v151, s[40:41]                // 000000024658: D1000097 00A32F42
	v_cmp_le_u32_e64 s[40:41], v240, v64                       // 000000024660: D0CB0028 000281F0
	v_add_u32_e32 v240, 64, v240                               // 000000024668: 69E1E0C0
	s_nop 0                                                    // 00000002466C: BF800000
	v_cndmask_b32_e64 v152, v66, v152, s[40:41]                // 000000024670: D1000098 00A33142
	v_cmp_le_u32_e64 s[40:41], v241, v64                       // 000000024678: D0CB0028 000281F1
	v_add_u32_e32 v241, 64, v241                               // 000000024680: 69E3E2C0
	s_nop 0                                                    // 000000024684: BF800000
	v_cndmask_b32_e64 v153, v66, v153, s[40:41]                // 000000024688: D1000099 00A33342
	v_cmp_le_u32_e64 s[40:41], v242, v64                       // 000000024690: D0CB0028 000281F2
	v_add_u32_e32 v242, 64, v242                               // 000000024698: 69E5E4C0
	s_nop 0                                                    // 00000002469C: BF800000
	v_cndmask_b32_e64 v154, v66, v154, s[40:41]                // 0000000246A0: D100009A 00A33542
	v_cmp_le_u32_e64 s[40:41], v243, v64                       // 0000000246A8: D0CB0028 000281F3
	v_add_u32_e32 v243, 64, v243                               // 0000000246B0: 69E7E6C0
	s_nop 0                                                    // 0000000246B4: BF800000
	v_cndmask_b32_e64 v155, v66, v155, s[40:41]                // 0000000246B8: D100009B 00A33742
	v_cmp_le_u32_e64 s[40:41], v240, v64                       // 0000000246C0: D0CB0028 000281F0
	v_add_u32_e32 v240, 64, v240                               // 0000000246C8: 69E1E0C0
	s_nop 0                                                    // 0000000246CC: BF800000
	v_cndmask_b32_e64 v156, v66, v156, s[40:41]                // 0000000246D0: D100009C 00A33942
	v_cmp_le_u32_e64 s[40:41], v241, v64                       // 0000000246D8: D0CB0028 000281F1
	v_add_u32_e32 v241, 64, v241                               // 0000000246E0: 69E3E2C0
	s_nop 0                                                    // 0000000246E4: BF800000
	v_cndmask_b32_e64 v157, v66, v157, s[40:41]                // 0000000246E8: D100009D 00A33B42
	v_cmp_le_u32_e64 s[40:41], v242, v64                       // 0000000246F0: D0CB0028 000281F2
	v_add_u32_e32 v242, 64, v242                               // 0000000246F8: 69E5E4C0
	s_nop 0                                                    // 0000000246FC: BF800000
	v_cndmask_b32_e64 v158, v66, v158, s[40:41]                // 000000024700: D100009E 00A33D42
	v_cmp_le_u32_e64 s[40:41], v243, v64                       // 000000024708: D0CB0028 000281F3
	v_add_u32_e32 v243, 64, v243                               // 000000024710: 69E7E6C0
	s_nop 0                                                    // 000000024714: BF800000
	v_cndmask_b32_e64 v159, v66, v159, s[40:41]                // 000000024718: D100009F 00A33F42

0000000000024720 <label_8948>:
	v_mov_b32_e32 v48, v144                                    // 000000024720: 7E600390
	v_max3_f32 v48, v144, v145, v48                            // 000000024724: D1D30030 04C32390
	v_max3_f32 v48, v146, v147, v48                            // 00000002472C: D1D30030 04C32792
	v_max3_f32 v48, v148, v149, v48                            // 000000024734: D1D30030 04C32B94
	v_max3_f32 v48, v150, v151, v48                            // 00000002473C: D1D30030 04C32F96
	v_max3_f32 v48, v152, v153, v48                            // 000000024744: D1D30030 04C33398
	v_max3_f32 v48, v154, v155, v48                            // 00000002474C: D1D30030 04C3379A
	v_max3_f32 v48, v156, v157, v48                            // 000000024754: D1D30030 04C33B9C
	v_max3_f32 v48, v158, v159, v48                            // 00000002475C: D1D30030 04C33F9E
	ds_write_b32 v8, v48 offset:16896                          // 000000024764: D81A4200 00003008
	v_mul_f32_e32 v224, v51, v224                              // 00000002476C: 0BC1C133
	v_mul_f32_e32 v225, v51, v225                              // 000000024770: 0BC3C333
	v_mul_f32_e32 v226, v51, v226                              // 000000024774: 0BC5C533
	v_mul_f32_e32 v227, v51, v227                              // 000000024778: 0BC7C733
	v_mul_f32_e32 v228, v51, v228                              // 00000002477C: 0BC9C933
	v_mul_f32_e32 v229, v51, v229                              // 000000024780: 0BCBCB33
	v_mul_f32_e32 v230, v51, v230                              // 000000024784: 0BCDCD33
	v_mul_f32_e32 v231, v51, v231                              // 000000024788: 0BCFCF33
	s_waitcnt lgkmcnt(0)                                       // 00000002478C: BF8CC07F
	s_barrier                                                  // 000000024790: BF8A0000
	ds_read_b32 v64, v7 offset:16896                           // 000000024794: D86C4200 40000007
	ds_read_b32 v65, v7 offset:16960                           // 00000002479C: D86C4240 41000007
	ds_read_b32 v66, v7 offset:17024                           // 0000000247A4: D86C4280 42000007
	ds_read_b32 v67, v7 offset:17088                           // 0000000247AC: D86C42C0 43000007
	ds_read_b32 v68, v7 offset:17152                           // 0000000247B4: D86C4300 44000007
	ds_read_b32 v69, v7 offset:17216                           // 0000000247BC: D86C4340 45000007
	ds_read_b32 v70, v7 offset:17280                           // 0000000247C4: D86C4380 46000007
	ds_read_b32 v71, v7 offset:17344                           // 0000000247CC: D86C43C0 47000007
	ds_read_b32 v72, v7 offset:17408                           // 0000000247D4: D86C4400 48000007
	ds_read_b32 v73, v7 offset:17472                           // 0000000247DC: D86C4440 49000007
	ds_read_b32 v74, v7 offset:17536                           // 0000000247E4: D86C4480 4A000007
	ds_read_b32 v75, v7 offset:17600                           // 0000000247EC: D86C44C0 4B000007
	ds_read_b32 v76, v7 offset:17664                           // 0000000247F4: D86C4500 4C000007
	ds_read_b32 v77, v7 offset:17728                           // 0000000247FC: D86C4540 4D000007
	ds_read_b32 v78, v7 offset:17792                           // 000000024804: D86C4580 4E000007
	ds_read_b32 v79, v7 offset:17856                           // 00000002480C: D86C45C0 4F000007
	v_mul_f32_e32 v192, v46, v192                              // 000000024814: 0B81812E
	v_mul_f32_e32 v193, v46, v193                              // 000000024818: 0B83832E
	v_mul_f32_e32 v194, v46, v194                              // 00000002481C: 0B85852E
	v_mul_f32_e32 v195, v46, v195                              // 000000024820: 0B87872E
	v_mul_f32_e32 v196, v46, v196                              // 000000024824: 0B89892E
	v_mul_f32_e32 v197, v46, v197                              // 000000024828: 0B8B8B2E
	v_mul_f32_e32 v198, v46, v198                              // 00000002482C: 0B8D8D2E
	v_mul_f32_e32 v199, v46, v199                              // 000000024830: 0B8F8F2E
	s_waitcnt lgkmcnt(0)                                       // 000000024834: BF8CC07F
	v_max3_f32 v48, v64, v65, v48                              // 000000024838: D1D30030 04C28340
	v_max3_f32 v48, v66, v67, v48                              // 000000024840: D1D30030 04C28742
	v_max3_f32 v48, v68, v69, v48                              // 000000024848: D1D30030 04C28B44
	v_max3_f32 v48, v70, v71, v48                              // 000000024850: D1D30030 04C28F46
	v_max3_f32 v48, v72, v73, v48                              // 000000024858: D1D30030 04C29348
	v_max3_f32 v48, v74, v75, v48                              // 000000024860: D1D30030 04C2974A
	v_max3_f32 v48, v76, v77, v48                              // 000000024868: D1D30030 04C29B4C
	v_max3_f32 v48, v78, v79, v48                              // 000000024870: D1D30030 04C29F4E
	v_mov_b32_e32 v64, 0xff800000                              // 000000024878: 7E8002FF FF800000
	v_cmp_eq_u32_e64 s[40:41], v64, v13                        // 000000024880: D0CA0028 00021B40
	s_nop 1                                                    // 000000024888: BF800001
	v_max_f32_e32 v15, v48, v13                                // 00000002488C: 161E1B30
	v_mul_f32_e32 v53, s64, v15                                // 000000024890: 0A6A1E40
	v_fma_f32 v144, v144, s64, -v53                            // 000000024894: D1CB0090 84D48190
	v_fma_f32 v145, v145, s64, -v53                            // 00000002489C: D1CB0091 84D48191
	v_fma_f32 v146, v146, s64, -v53                            // 0000000248A4: D1CB0092 84D48192
	v_fma_f32 v147, v147, s64, -v53                            // 0000000248AC: D1CB0093 84D48193
	v_fma_f32 v148, v148, s64, -v53                            // 0000000248B4: D1CB0094 84D48194
	v_fma_f32 v149, v149, s64, -v53                            // 0000000248BC: D1CB0095 84D48195
	v_fma_f32 v150, v150, s64, -v53                            // 0000000248C4: D1CB0096 84D48196
	v_fma_f32 v151, v151, s64, -v53                            // 0000000248CC: D1CB0097 84D48197
	v_fma_f32 v152, v152, s64, -v53                            // 0000000248D4: D1CB0098 84D48198
	v_fma_f32 v153, v153, s64, -v53                            // 0000000248DC: D1CB0099 84D48199
	v_fma_f32 v154, v154, s64, -v53                            // 0000000248E4: D1CB009A 84D4819A
	v_fma_f32 v155, v155, s64, -v53                            // 0000000248EC: D1CB009B 84D4819B
	v_fma_f32 v156, v156, s64, -v53                            // 0000000248F4: D1CB009C 84D4819C
	v_fma_f32 v157, v157, s64, -v53                            // 0000000248FC: D1CB009D 84D4819D
	v_fma_f32 v158, v158, s64, -v53                            // 000000024904: D1CB009E 84D4819E
	v_fma_f32 v159, v159, s64, -v53                            // 00000002490C: D1CB009F 84D4819F
	v_exp_f32_e32 v144, v144                                   // 000000024914: 7F204190
	v_exp_f32_e32 v145, v145                                   // 000000024918: 7F224191
	v_exp_f32_e32 v146, v146                                   // 00000002491C: 7F244192
	v_exp_f32_e32 v147, v147                                   // 000000024920: 7F264193
	v_exp_f32_e32 v148, v148                                   // 000000024924: 7F284194
	v_exp_f32_e32 v149, v149                                   // 000000024928: 7F2A4195
	v_exp_f32_e32 v150, v150                                   // 00000002492C: 7F2C4196
	v_exp_f32_e32 v151, v151                                   // 000000024930: 7F2E4197
	v_exp_f32_e32 v152, v152                                   // 000000024934: 7F304198
	v_exp_f32_e32 v153, v153                                   // 000000024938: 7F324199
	v_exp_f32_e32 v154, v154                                   // 00000002493C: 7F34419A
	v_exp_f32_e32 v155, v155                                   // 000000024940: 7F36419B
	v_exp_f32_e32 v156, v156                                   // 000000024944: 7F38419C
	v_exp_f32_e32 v157, v157                                   // 000000024948: 7F3A419D
	v_exp_f32_e32 v158, v158                                   // 00000002494C: 7F3C419E
	v_exp_f32_e32 v159, v159                                   // 000000024950: 7F3E419F
	v_mul_f32_dpp v240, v252, v144 quad_perm:[0,0,0,0] row_mask:0xf bank_mask:0xf// 000000024954: 0BE120FA FF0000FC
	v_mul_f32_dpp v241, v252, v145 quad_perm:[1,1,1,1] row_mask:0xf bank_mask:0xf// 00000002495C: 0BE322FA FF0055FC
	v_mul_f32_dpp v242, v252, v146 quad_perm:[2,2,2,2] row_mask:0xf bank_mask:0xf// 000000024964: 0BE524FA FF00AAFC
	v_mul_f32_dpp v243, v252, v147 quad_perm:[3,3,3,3] row_mask:0xf bank_mask:0xf// 00000002496C: 0BE726FA FF00FFFC
	v_mul_f32_dpp v244, v253, v148 quad_perm:[0,0,0,0] row_mask:0xf bank_mask:0xf// 000000024974: 0BE928FA FF0000FD
	v_mul_f32_dpp v245, v253, v149 quad_perm:[1,1,1,1] row_mask:0xf bank_mask:0xf// 00000002497C: 0BEB2AFA FF0055FD
	v_mul_f32_dpp v246, v253, v150 quad_perm:[2,2,2,2] row_mask:0xf bank_mask:0xf// 000000024984: 0BED2CFA FF00AAFD
	v_mul_f32_dpp v247, v253, v151 quad_perm:[3,3,3,3] row_mask:0xf bank_mask:0xf// 00000002498C: 0BEF2EFA FF00FFFD
	v_mul_f32_dpp v248, v254, v152 quad_perm:[0,0,0,0] row_mask:0xf bank_mask:0xf// 000000024994: 0BF130FA FF0000FE
	v_mul_f32_dpp v249, v254, v153 quad_perm:[1,1,1,1] row_mask:0xf bank_mask:0xf// 00000002499C: 0BF332FA FF0055FE
	v_mul_f32_dpp v250, v254, v154 quad_perm:[2,2,2,2] row_mask:0xf bank_mask:0xf// 0000000249A4: 0BF534FA FF00AAFE
	v_mul_f32_dpp v251, v254, v155 quad_perm:[3,3,3,3] row_mask:0xf bank_mask:0xf// 0000000249AC: 0BF736FA FF00FFFE
	v_mul_f32_dpp v252, v255, v156 quad_perm:[0,0,0,0] row_mask:0xf bank_mask:0xf// 0000000249B4: 0BF938FA FF0000FF
	v_mul_f32_dpp v253, v255, v157 quad_perm:[1,1,1,1] row_mask:0xf bank_mask:0xf// 0000000249BC: 0BFB3AFA FF0055FF
	v_mul_f32_dpp v254, v255, v158 quad_perm:[2,2,2,2] row_mask:0xf bank_mask:0xf// 0000000249C4: 0BFD3CFA FF00AAFF
	v_mul_f32_dpp v255, v255, v159 quad_perm:[3,3,3,3] row_mask:0xf bank_mask:0xf// 0000000249CC: 0BFF3EFA FF00FFFF
	v_mov_b32_e32 v48, 0x358637bd                              // 0000000249D4: 7E6002FF 358637BD
	v_max3_f32 v48, |v240|, |v241|, v48                        // 0000000249DC: D1D30330 04C3E3F0
	v_max3_f32 v48, |v242|, |v243|, v48                        // 0000000249E4: D1D30330 04C3E7F2
	v_max3_f32 v48, |v244|, |v245|, v48                        // 0000000249EC: D1D30330 04C3EBF4
	v_max3_f32 v48, |v246|, |v247|, v48                        // 0000000249F4: D1D30330 04C3EFF6
	v_max3_f32 v48, |v248|, |v249|, v48                        // 0000000249FC: D1D30330 04C3F3F8
	v_max3_f32 v48, |v250|, |v251|, v48                        // 000000024A04: D1D30330 04C3F7FA
	v_max3_f32 v48, |v252|, |v253|, v48                        // 000000024A0C: D1D30330 04C3FBFC
	v_max3_f32 v48, |v254|, |v255|, v48                        // 000000024A14: D1D30330 04C3FFFE
	ds_write_b32 v8, v48 offset:20992                          // 000000024A1C: D81A5200 00003008
	v_sub_f32_e32 v51, v13, v15                                // 000000024A24: 04661F0D
	v_cndmask_b32_e64 v51, v51, 0, s[40:41]                    // 000000024A28: D1000033 00A10133
	v_mov_b32_e32 v13, v15                                     // 000000024A30: 7E1A030F
	v_mul_f32_e32 v51, s64, v51                                // 000000024A34: 0A666640
	v_exp_f32_e32 v51, v51                                     // 000000024A38: 7E664133
	s_waitcnt lgkmcnt(0)                                       // 000000024A3C: BF8CC07F
	s_barrier                                                  // 000000024A40: BF8A0000
	ds_read_b32 v64, v7 offset:20992                           // 000000024A44: D86C5200 40000007
	ds_read_b32 v65, v7 offset:21056                           // 000000024A4C: D86C5240 41000007
	ds_read_b32 v66, v7 offset:21120                           // 000000024A54: D86C5280 42000007
	ds_read_b32 v67, v7 offset:21184                           // 000000024A5C: D86C52C0 43000007
	ds_read_b32 v68, v7 offset:21248                           // 000000024A64: D86C5300 44000007
	ds_read_b32 v69, v7 offset:21312                           // 000000024A6C: D86C5340 45000007
	ds_read_b32 v70, v7 offset:21376                           // 000000024A74: D86C5380 46000007
	ds_read_b32 v71, v7 offset:21440                           // 000000024A7C: D86C53C0 47000007
	ds_read_b32 v72, v7 offset:21504                           // 000000024A84: D86C5400 48000007
	ds_read_b32 v73, v7 offset:21568                           // 000000024A8C: D86C5440 49000007
	ds_read_b32 v74, v7 offset:21632                           // 000000024A94: D86C5480 4A000007
	ds_read_b32 v75, v7 offset:21696                           // 000000024A9C: D86C54C0 4B000007
	ds_read_b32 v76, v7 offset:21760                           // 000000024AA4: D86C5500 4C000007
	ds_read_b32 v77, v7 offset:21824                           // 000000024AAC: D86C5540 4D000007
	ds_read_b32 v78, v7 offset:21888                           // 000000024AB4: D86C5580 4E000007
	ds_read_b32 v79, v7 offset:21952                           // 000000024ABC: D86C55C0 4F000007
	v_mul_f32_e32 v40, v51, v40                                // 000000024AC4: 0A505133
	v_mov_b32_e32 v15, v144                                    // 000000024AC8: 7E1E0390
	v_add_f32_e32 v15, v145, v15                               // 000000024ACC: 021E1F91
	v_add_f32_e32 v15, v146, v15                               // 000000024AD0: 021E1F92
	v_add_f32_e32 v15, v147, v15                               // 000000024AD4: 021E1F93
	v_add_f32_e32 v15, v148, v15                               // 000000024AD8: 021E1F94
	v_add_f32_e32 v15, v149, v15                               // 000000024ADC: 021E1F95
	v_add_f32_e32 v15, v150, v15                               // 000000024AE0: 021E1F96
	v_add_f32_e32 v15, v151, v15                               // 000000024AE4: 021E1F97
	v_add_f32_e32 v15, v152, v15                               // 000000024AE8: 021E1F98
	v_add_f32_e32 v15, v153, v15                               // 000000024AEC: 021E1F99
	v_add_f32_e32 v15, v154, v15                               // 000000024AF0: 021E1F9A
	v_add_f32_e32 v15, v155, v15                               // 000000024AF4: 021E1F9B
	v_add_f32_e32 v15, v156, v15                               // 000000024AF8: 021E1F9C
	v_add_f32_e32 v15, v157, v15                               // 000000024AFC: 021E1F9D
	v_add_f32_e32 v15, v158, v15                               // 000000024B00: 021E1F9E
	v_add_f32_e32 v15, v159, v15                               // 000000024B04: 021E1F9F
	v_add_f32_e32 v40, v15, v40                                // 000000024B08: 0250510F
	s_waitcnt lgkmcnt(0)                                       // 000000024B0C: BF8CC07F
	v_max3_f32 v48, |v64|, |v65|, v48                          // 000000024B10: D1D30330 04C28340
	v_max3_f32 v48, |v66|, |v67|, v48                          // 000000024B18: D1D30330 04C28742
	v_max3_f32 v48, |v68|, |v69|, v48                          // 000000024B20: D1D30330 04C28B44
	v_max3_f32 v48, |v70|, |v71|, v48                          // 000000024B28: D1D30330 04C28F46
	v_max3_f32 v48, |v72|, |v73|, v48                          // 000000024B30: D1D30330 04C29348
	v_max3_f32 v48, |v74|, |v75|, v48                          // 000000024B38: D1D30330 04C2974A
	v_max3_f32 v48, |v76|, |v77|, v48                          // 000000024B40: D1D30330 04C29B4C
	v_max3_f32 v48, |v78|, |v79|, v48                          // 000000024B48: D1D30330 04C29F4E
	s_nop 2                                                    // 000000024B50: BF800002
	v_rcp_f32_e32 v48, v48                                     // 000000024B54: 7E604530
	s_nop 1                                                    // 000000024B58: BF800001
	v_mul_f32_e32 v48, 0x43e00000, v48                         // 000000024B5C: 0A6060FF 43E00000
	v_mul_f32_e32 v144, v48, v240                              // 000000024B64: 0B21E130
	v_mul_f32_e32 v145, v48, v241                              // 000000024B68: 0B23E330
	v_mul_f32_e32 v146, v48, v242                              // 000000024B6C: 0B25E530
	v_mul_f32_e32 v147, v48, v243                              // 000000024B70: 0B27E730
	v_mul_f32_e32 v148, v48, v244                              // 000000024B74: 0B29E930
	v_mul_f32_e32 v149, v48, v245                              // 000000024B78: 0B2BEB30
	v_mul_f32_e32 v150, v48, v246                              // 000000024B7C: 0B2DED30
	v_mul_f32_e32 v151, v48, v247                              // 000000024B80: 0B2FEF30
	v_mul_f32_e32 v152, v48, v248                              // 000000024B84: 0B31F130
	v_mul_f32_e32 v153, v48, v249                              // 000000024B88: 0B33F330
	v_mul_f32_e32 v154, v48, v250                              // 000000024B8C: 0B35F530
	v_mul_f32_e32 v155, v48, v251                              // 000000024B90: 0B37F730
	v_mul_f32_e32 v156, v48, v252                              // 000000024B94: 0B39F930
	v_mul_f32_e32 v157, v48, v253                              // 000000024B98: 0B3BFB30
	v_mul_f32_e32 v158, v48, v254                              // 000000024B9C: 0B3DFD30
	v_mul_f32_e32 v159, v48, v255                              // 000000024BA0: 0B3FFF30
	v_cvt_pk_fp8_f32 v144, v144, v145                          // 000000024BA4: D2A20090 00032390
	v_cvt_pk_fp8_f32 v144, v146, v147 op_sel:[0,0,1]           // 000000024BAC: D2A24090 00032792
	v_cvt_pk_fp8_f32 v145, v148, v149                          // 000000024BB4: D2A20091 00032B94
	v_cvt_pk_fp8_f32 v145, v150, v151 op_sel:[0,0,1]           // 000000024BBC: D2A24091 00032F96
	v_cvt_pk_fp8_f32 v146, v152, v153                          // 000000024BC4: D2A20092 00033398
	v_cvt_pk_fp8_f32 v146, v154, v155 op_sel:[0,0,1]           // 000000024BCC: D2A24092 0003379A
	v_cvt_pk_fp8_f32 v147, v156, v157                          // 000000024BD4: D2A20093 00033B9C
	v_cvt_pk_fp8_f32 v147, v158, v159 op_sel:[0,0,1]           // 000000024BDC: D2A24093 00033F9E
	ds_write_b32 v10, v144 offset:33280                        // 000000024BE4: D81A8200 0000900A
	ds_write_b32 v10, v145 offset:34304                        // 000000024BEC: D81A8600 0000910A
	ds_write_b32 v10, v146 offset:35328                        // 000000024BF4: D81A8A00 0000920A
	ds_write_b32 v10, v147 offset:36352                        // 000000024BFC: D81A8E00 0000930A
	v_add_f32_e32 v224, v224, v192                             // 000000024C04: 03C181E0
	v_add_f32_e32 v225, v225, v193                             // 000000024C08: 03C383E1
	v_add_f32_e32 v226, v226, v194                             // 000000024C0C: 03C585E2
	v_add_f32_e32 v227, v227, v195                             // 000000024C10: 03C787E3
	v_add_f32_e32 v228, v228, v196                             // 000000024C14: 03C989E4
	v_add_f32_e32 v229, v229, v197                             // 000000024C18: 03CB8BE5
	v_add_f32_e32 v230, v230, v198                             // 000000024C1C: 03CD8DE6
	v_add_f32_e32 v231, v231, v199                             // 000000024C20: 03CF8FE7
	v_rcp_f32_e32 v46, v48                                     // 000000024C24: 7E5C4530
	s_waitcnt lgkmcnt(0)                                       // 000000024C28: BF8CC07F
	s_barrier                                                  // 000000024C2C: BF8A0000
	ds_read_b64 v[144:145], v9 offset:33280                    // 000000024C30: D8EC8200 90000009
	ds_read_b64 v[146:147], v9 offset:33408                    // 000000024C38: D8EC8280 92000009
	ds_read_b64 v[148:149], v9 offset:34304                    // 000000024C40: D8EC8600 94000009
	ds_read_b64 v[150:151], v9 offset:34432                    // 000000024C48: D8EC8680 96000009
	ds_read_b64 v[152:153], v9 offset:35328                    // 000000024C50: D8EC8A00 98000009
	ds_read_b64 v[154:155], v9 offset:35456                    // 000000024C58: D8EC8A80 9A000009
	ds_read_b64 v[156:157], v9 offset:36352                    // 000000024C60: D8EC8E00 9C000009
	ds_read_b64 v[158:159], v9 offset:36480                    // 000000024C68: D8EC8E80 9E000009
	v_mov_b32_dpp v64, v42 row_shr:4 row_mask:0xf bank_mask:0xf// 000000024C70: 7E8002FA FF01142A
	v_mov_b32_dpp v65, v42 row_shl:4 row_mask:0xf bank_mask:0xf// 000000024C78: 7E8202FA FF01042A
	v_cndmask_b32_e64 v248, v42, v64, s[44:45]                 // 000000024C80: D10000F8 00B2812A
	v_cndmask_b32_e64 v249, v65, v42, s[44:45]                 // 000000024C88: D10000F9 00B25541
	v_mov_b32_dpp v64, v248 row_shr:8 row_mask:0xf bank_mask:0xf// 000000024C90: 7E8002FA FF0118F8
	v_mov_b32_dpp v65, v248 row_shl:8 row_mask:0xf bank_mask:0xf// 000000024C98: 7E8202FA FF0108F8
	v_mov_b32_dpp v66, v249 row_shr:8 row_mask:0xf bank_mask:0xf// 000000024CA0: 7E8402FA FF0118F9
	v_mov_b32_dpp v67, v249 row_shl:8 row_mask:0xf bank_mask:0xf// 000000024CA8: 7E8602FA FF0108F9
	v_mov_b32_e32 v68, v248                                    // 000000024CB0: 7E8803F8
	v_mov_b32_e32 v69, v249                                    // 000000024CB4: 7E8A03F9
	v_cndmask_b32_e64 v248, v68, v64, s[42:43]                 // 000000024CB8: D10000F8 00AA8144
	v_cndmask_b32_e64 v250, v68, v65, s[78:79]                 // 000000024CC0: D10000FA 013A8344
	v_cndmask_b32_e64 v249, v69, v66, s[42:43]                 // 000000024CC8: D10000F9 00AA8545
	v_cndmask_b32_e64 v251, v69, v67, s[78:79]                 // 000000024CD0: D10000FB 013A8745
	v_mov_b32_dpp v64, v57 row_shr:4 row_mask:0xf bank_mask:0xf// 000000024CD8: 7E8002FA FF011439
	v_mov_b32_dpp v65, v57 row_shl:4 row_mask:0xf bank_mask:0xf// 000000024CE0: 7E8202FA FF010439
	v_cndmask_b32_e64 v252, v57, v64, s[44:45]                 // 000000024CE8: D10000FC 00B28139
	v_cndmask_b32_e64 v253, v65, v57, s[44:45]                 // 000000024CF0: D10000FD 00B27341
	v_mov_b32_dpp v64, v252 row_shr:8 row_mask:0xf bank_mask:0xf// 000000024CF8: 7E8002FA FF0118FC
	v_mov_b32_dpp v65, v252 row_shl:8 row_mask:0xf bank_mask:0xf// 000000024D00: 7E8202FA FF0108FC
	v_mov_b32_dpp v66, v253 row_shr:8 row_mask:0xf bank_mask:0xf// 000000024D08: 7E8402FA FF0118FD
	v_mov_b32_dpp v67, v253 row_shl:8 row_mask:0xf bank_mask:0xf// 000000024D10: 7E8602FA FF0108FD
	v_mov_b32_e32 v68, v252                                    // 000000024D18: 7E8803FC
	v_mov_b32_e32 v69, v253                                    // 000000024D1C: 7E8A03FD
	v_cndmask_b32_e64 v252, v68, v64, s[42:43]                 // 000000024D20: D10000FC 00AA8144
	v_cndmask_b32_e64 v254, v68, v65, s[78:79]                 // 000000024D28: D10000FE 013A8344
	v_cndmask_b32_e64 v253, v69, v66, s[42:43]                 // 000000024D30: D10000FD 00AA8545
	v_cndmask_b32_e64 v255, v69, v67, s[78:79]                 // 000000024D38: D10000FF 013A8745
	v_mul_f32_e32 v160, v21, v160                              // 000000024D40: 0B414115
	v_mul_f32_e32 v161, v21, v161                              // 000000024D44: 0B434315
	v_mul_f32_e32 v162, v21, v162                              // 000000024D48: 0B454515
	v_mul_f32_e32 v163, v21, v163                              // 000000024D4C: 0B474715
	v_mul_f32_e32 v164, v21, v164                              // 000000024D50: 0B494915
	v_mul_f32_e32 v165, v21, v165                              // 000000024D54: 0B4B4B15
	v_mul_f32_e32 v166, v21, v166                              // 000000024D58: 0B4D4D15
	v_mul_f32_e32 v167, v21, v167                              // 000000024D5C: 0B4F4F15
	v_mul_f32_e32 v168, v21, v168                              // 000000024D60: 0B515115
	v_mul_f32_e32 v169, v21, v169                              // 000000024D64: 0B535315
	v_mul_f32_e32 v170, v21, v170                              // 000000024D68: 0B555515
	v_mul_f32_e32 v171, v21, v171                              // 000000024D6C: 0B575715
	v_mul_f32_e32 v172, v21, v172                              // 000000024D70: 0B595915
	v_mul_f32_e32 v173, v21, v173                              // 000000024D74: 0B5B5B15
	v_mul_f32_e32 v174, v21, v174                              // 000000024D78: 0B5D5D15
	v_mul_f32_e32 v175, v21, v175                              // 000000024D7C: 0B5F5F15
	v_mul_f32_dpp v160, v248, v160 quad_perm:[0,0,0,0] row_mask:0xf bank_mask:0xf// 000000024D80: 0B4140FA FF0000F8
	v_mul_f32_dpp v161, v248, v161 quad_perm:[1,1,1,1] row_mask:0xf bank_mask:0xf// 000000024D88: 0B4342FA FF0055F8
	v_mul_f32_dpp v162, v248, v162 quad_perm:[2,2,2,2] row_mask:0xf bank_mask:0xf// 000000024D90: 0B4544FA FF00AAF8
	v_mul_f32_dpp v163, v248, v163 quad_perm:[3,3,3,3] row_mask:0xf bank_mask:0xf// 000000024D98: 0B4746FA FF00FFF8
	v_mul_f32_dpp v164, v249, v164 quad_perm:[0,0,0,0] row_mask:0xf bank_mask:0xf// 000000024DA0: 0B4948FA FF0000F9
	v_mul_f32_dpp v165, v249, v165 quad_perm:[1,1,1,1] row_mask:0xf bank_mask:0xf// 000000024DA8: 0B4B4AFA FF0055F9
	v_mul_f32_dpp v166, v249, v166 quad_perm:[2,2,2,2] row_mask:0xf bank_mask:0xf// 000000024DB0: 0B4D4CFA FF00AAF9
	v_mul_f32_dpp v167, v249, v167 quad_perm:[3,3,3,3] row_mask:0xf bank_mask:0xf// 000000024DB8: 0B4F4EFA FF00FFF9
	v_mul_f32_dpp v168, v250, v168 quad_perm:[0,0,0,0] row_mask:0xf bank_mask:0xf// 000000024DC0: 0B5150FA FF0000FA
	v_mul_f32_dpp v169, v250, v169 quad_perm:[1,1,1,1] row_mask:0xf bank_mask:0xf// 000000024DC8: 0B5352FA FF0055FA
	v_mul_f32_dpp v170, v250, v170 quad_perm:[2,2,2,2] row_mask:0xf bank_mask:0xf// 000000024DD0: 0B5554FA FF00AAFA
	v_mul_f32_dpp v171, v250, v171 quad_perm:[3,3,3,3] row_mask:0xf bank_mask:0xf// 000000024DD8: 0B5756FA FF00FFFA
	v_mul_f32_dpp v172, v251, v172 quad_perm:[0,0,0,0] row_mask:0xf bank_mask:0xf// 000000024DE0: 0B5958FA FF0000FB
	v_mul_f32_dpp v173, v251, v173 quad_perm:[1,1,1,1] row_mask:0xf bank_mask:0xf// 000000024DE8: 0B5B5AFA FF0055FB
	v_mul_f32_dpp v174, v251, v174 quad_perm:[2,2,2,2] row_mask:0xf bank_mask:0xf// 000000024DF0: 0B5D5CFA FF00AAFB
	v_mul_f32_dpp v175, v251, v175 quad_perm:[3,3,3,3] row_mask:0xf bank_mask:0xf// 000000024DF8: 0B5F5EFA FF00FFFB
	s_cmp_le_i32 s90, s89                                      // 000000024E00: BF05595A
	s_cbranch_scc1 label_8B73                                  // 000000024E04: BF850071
	v_mov_b32_e32 v66, 0xff800000                              // 000000024E08: 7E8402FF FF800000
	s_mov_b32 s60, s90                                         // 000000024E10: BEBC005A
	s_add_u32 s61, s89, 0xff                                   // 000000024E14: 803DFF59 000000FF
	v_mov_b32_e32 v64, s61                                     // 000000024E1C: 7E80023D
	v_lshrrev_b32_e32 v240, 4, v0                              // 000000024E20: 21E00084
	v_mul_i32_i24_e32 v240, 4, v240                            // 000000024E24: 0DE1E084
	v_add_u32_e32 v240, s60, v240                              // 000000024E28: 69E1E03C
	s_mov_b32 s61, 3                                           // 000000024E2C: BEBD0083
	s_mul_i32 s60, 16, s7                                      // 000000024E30: 923C0790
	v_sub_u32_e64 v240, v240, s61                              // 000000024E34: D13500F0 00007BF0
	v_add_u32_e32 v240, s60, v240                              // 000000024E3C: 69E1E03C
	v_add_u32_e32 v241, 1, v240                                // 000000024E40: 69E3E081
	v_add_u32_e32 v242, 2, v240                                // 000000024E44: 69E5E082
	v_add_u32_e32 v243, 3, v240                                // 000000024E48: 69E7E083
	v_cmp_le_u32_e64 s[40:41], v240, v64                       // 000000024E4C: D0CB0028 000281F0
	v_add_u32_e32 v240, 64, v240                               // 000000024E54: 69E1E0C0
	s_nop 0                                                    // 000000024E58: BF800000
	v_cndmask_b32_e64 v160, v66, v160, s[40:41]                // 000000024E5C: D10000A0 00A34142
	v_cmp_le_u32_e64 s[40:41], v241, v64                       // 000000024E64: D0CB0028 000281F1
	v_add_u32_e32 v241, 64, v241                               // 000000024E6C: 69E3E2C0
	s_nop 0                                                    // 000000024E70: BF800000
	v_cndmask_b32_e64 v161, v66, v161, s[40:41]                // 000000024E74: D10000A1 00A34342
	v_cmp_le_u32_e64 s[40:41], v242, v64                       // 000000024E7C: D0CB0028 000281F2
	v_add_u32_e32 v242, 64, v242                               // 000000024E84: 69E5E4C0
	s_nop 0                                                    // 000000024E88: BF800000
	v_cndmask_b32_e64 v162, v66, v162, s[40:41]                // 000000024E8C: D10000A2 00A34542
	v_cmp_le_u32_e64 s[40:41], v243, v64                       // 000000024E94: D0CB0028 000281F3
	v_add_u32_e32 v243, 64, v243                               // 000000024E9C: 69E7E6C0
	s_nop 0                                                    // 000000024EA0: BF800000
	v_cndmask_b32_e64 v163, v66, v163, s[40:41]                // 000000024EA4: D10000A3 00A34742
	v_cmp_le_u32_e64 s[40:41], v240, v64                       // 000000024EAC: D0CB0028 000281F0
	v_add_u32_e32 v240, 64, v240                               // 000000024EB4: 69E1E0C0
	s_nop 0                                                    // 000000024EB8: BF800000
	v_cndmask_b32_e64 v164, v66, v164, s[40:41]                // 000000024EBC: D10000A4 00A34942
	v_cmp_le_u32_e64 s[40:41], v241, v64                       // 000000024EC4: D0CB0028 000281F1
	v_add_u32_e32 v241, 64, v241                               // 000000024ECC: 69E3E2C0
	s_nop 0                                                    // 000000024ED0: BF800000
	v_cndmask_b32_e64 v165, v66, v165, s[40:41]                // 000000024ED4: D10000A5 00A34B42
	v_cmp_le_u32_e64 s[40:41], v242, v64                       // 000000024EDC: D0CB0028 000281F2
	v_add_u32_e32 v242, 64, v242                               // 000000024EE4: 69E5E4C0
	s_nop 0                                                    // 000000024EE8: BF800000
	v_cndmask_b32_e64 v166, v66, v166, s[40:41]                // 000000024EEC: D10000A6 00A34D42
	v_cmp_le_u32_e64 s[40:41], v243, v64                       // 000000024EF4: D0CB0028 000281F3
	v_add_u32_e32 v243, 64, v243                               // 000000024EFC: 69E7E6C0
	s_nop 0                                                    // 000000024F00: BF800000
	v_cndmask_b32_e64 v167, v66, v167, s[40:41]                // 000000024F04: D10000A7 00A34F42
	v_cmp_le_u32_e64 s[40:41], v240, v64                       // 000000024F0C: D0CB0028 000281F0
	v_add_u32_e32 v240, 64, v240                               // 000000024F14: 69E1E0C0
	s_nop 0                                                    // 000000024F18: BF800000
	v_cndmask_b32_e64 v168, v66, v168, s[40:41]                // 000000024F1C: D10000A8 00A35142
	v_cmp_le_u32_e64 s[40:41], v241, v64                       // 000000024F24: D0CB0028 000281F1
	v_add_u32_e32 v241, 64, v241                               // 000000024F2C: 69E3E2C0
	s_nop 0                                                    // 000000024F30: BF800000
	v_cndmask_b32_e64 v169, v66, v169, s[40:41]                // 000000024F34: D10000A9 00A35342
	v_cmp_le_u32_e64 s[40:41], v242, v64                       // 000000024F3C: D0CB0028 000281F2
	v_add_u32_e32 v242, 64, v242                               // 000000024F44: 69E5E4C0
	s_nop 0                                                    // 000000024F48: BF800000
	v_cndmask_b32_e64 v170, v66, v170, s[40:41]                // 000000024F4C: D10000AA 00A35542
	v_cmp_le_u32_e64 s[40:41], v243, v64                       // 000000024F54: D0CB0028 000281F3
	v_add_u32_e32 v243, 64, v243                               // 000000024F5C: 69E7E6C0
	s_nop 0                                                    // 000000024F60: BF800000
	v_cndmask_b32_e64 v171, v66, v171, s[40:41]                // 000000024F64: D10000AB 00A35742
	v_cmp_le_u32_e64 s[40:41], v240, v64                       // 000000024F6C: D0CB0028 000281F0
	v_add_u32_e32 v240, 64, v240                               // 000000024F74: 69E1E0C0
	s_nop 0                                                    // 000000024F78: BF800000
	v_cndmask_b32_e64 v172, v66, v172, s[40:41]                // 000000024F7C: D10000AC 00A35942
	v_cmp_le_u32_e64 s[40:41], v241, v64                       // 000000024F84: D0CB0028 000281F1
	v_add_u32_e32 v241, 64, v241                               // 000000024F8C: 69E3E2C0
	s_nop 0                                                    // 000000024F90: BF800000
	v_cndmask_b32_e64 v173, v66, v173, s[40:41]                // 000000024F94: D10000AD 00A35B42
	v_cmp_le_u32_e64 s[40:41], v242, v64                       // 000000024F9C: D0CB0028 000281F2
	v_add_u32_e32 v242, 64, v242                               // 000000024FA4: 69E5E4C0
	s_nop 0                                                    // 000000024FA8: BF800000
	v_cndmask_b32_e64 v174, v66, v174, s[40:41]                // 000000024FAC: D10000AE 00A35D42
	v_cmp_le_u32_e64 s[40:41], v243, v64                       // 000000024FB4: D0CB0028 000281F3
	v_add_u32_e32 v243, 64, v243                               // 000000024FBC: 69E7E6C0
	s_nop 0                                                    // 000000024FC0: BF800000
	v_cndmask_b32_e64 v175, v66, v175, s[40:41]                // 000000024FC4: D10000AF 00A35F42

0000000000024fcc <label_8B73>:
	s_add_u32 s90, s91, s90                                    // 000000024FCC: 805A5A5B
	v_mov_b32_e32 v48, v160                                    // 000000024FD0: 7E6003A0
	v_max3_f32 v48, v160, v161, v48                            // 000000024FD4: D1D30030 04C343A0
	v_max3_f32 v48, v162, v163, v48                            // 000000024FDC: D1D30030 04C347A2
	v_max3_f32 v48, v164, v165, v48                            // 000000024FE4: D1D30030 04C34BA4
	v_max3_f32 v48, v166, v167, v48                            // 000000024FEC: D1D30030 04C34FA6
	v_max3_f32 v48, v168, v169, v48                            // 000000024FF4: D1D30030 04C353A8
	v_max3_f32 v48, v170, v171, v48                            // 000000024FFC: D1D30030 04C357AA
	v_max3_f32 v48, v172, v173, v48                            // 000000025004: D1D30030 04C35BAC
	v_max3_f32 v48, v174, v175, v48                            // 00000002500C: D1D30030 04C35FAE
	ds_write_b32 v8, v48 offset:16896                          // 000000025014: D81A4200 00003008
	v_mul_f32_e32 v232, v52, v232                              // 00000002501C: 0BD1D134
	v_mul_f32_e32 v233, v52, v233                              // 000000025020: 0BD3D334
	v_mul_f32_e32 v234, v52, v234                              // 000000025024: 0BD5D534
	v_mul_f32_e32 v235, v52, v235                              // 000000025028: 0BD7D734
	v_mul_f32_e32 v236, v52, v236                              // 00000002502C: 0BD9D934
	v_mul_f32_e32 v237, v52, v237                              // 000000025030: 0BDBDB34
	v_mul_f32_e32 v238, v52, v238                              // 000000025034: 0BDDDD34
	v_mul_f32_e32 v239, v52, v239                              // 000000025038: 0BDFDF34
	s_waitcnt lgkmcnt(0)                                       // 00000002503C: BF8CC07F
	s_barrier                                                  // 000000025040: BF8A0000
	ds_read_b32 v64, v7 offset:16896                           // 000000025044: D86C4200 40000007
	ds_read_b32 v65, v7 offset:16960                           // 00000002504C: D86C4240 41000007
	ds_read_b32 v66, v7 offset:17024                           // 000000025054: D86C4280 42000007
	ds_read_b32 v67, v7 offset:17088                           // 00000002505C: D86C42C0 43000007
	ds_read_b32 v68, v7 offset:17152                           // 000000025064: D86C4300 44000007
	ds_read_b32 v69, v7 offset:17216                           // 00000002506C: D86C4340 45000007
	ds_read_b32 v70, v7 offset:17280                           // 000000025074: D86C4380 46000007
	ds_read_b32 v71, v7 offset:17344                           // 00000002507C: D86C43C0 47000007
	ds_read_b32 v72, v7 offset:17408                           // 000000025084: D86C4400 48000007
	ds_read_b32 v73, v7 offset:17472                           // 00000002508C: D86C4440 49000007
	ds_read_b32 v74, v7 offset:17536                           // 000000025094: D86C4480 4A000007
	ds_read_b32 v75, v7 offset:17600                           // 00000002509C: D86C44C0 4B000007
	ds_read_b32 v76, v7 offset:17664                           // 0000000250A4: D86C4500 4C000007
	ds_read_b32 v77, v7 offset:17728                           // 0000000250AC: D86C4540 4D000007
	ds_read_b32 v78, v7 offset:17792                           // 0000000250B4: D86C4580 4E000007
	ds_read_b32 v79, v7 offset:17856                           // 0000000250BC: D86C45C0 4F000007
	v_mul_f32_e32 v200, v47, v200                              // 0000000250C4: 0B91912F
	v_mul_f32_e32 v201, v47, v201                              // 0000000250C8: 0B93932F
	v_mul_f32_e32 v202, v47, v202                              // 0000000250CC: 0B95952F
	v_mul_f32_e32 v203, v47, v203                              // 0000000250D0: 0B97972F
	v_mul_f32_e32 v204, v47, v204                              // 0000000250D4: 0B99992F
	v_mul_f32_e32 v205, v47, v205                              // 0000000250D8: 0B9B9B2F
	v_mul_f32_e32 v206, v47, v206                              // 0000000250DC: 0B9D9D2F
	v_mul_f32_e32 v207, v47, v207                              // 0000000250E0: 0B9F9F2F
	s_waitcnt lgkmcnt(0)                                       // 0000000250E4: BF8CC07F
	v_max3_f32 v48, v64, v65, v48                              // 0000000250E8: D1D30030 04C28340
	v_max3_f32 v48, v66, v67, v48                              // 0000000250F0: D1D30030 04C28742
	v_max3_f32 v48, v68, v69, v48                              // 0000000250F8: D1D30030 04C28B44
	v_max3_f32 v48, v70, v71, v48                              // 000000025100: D1D30030 04C28F46
	v_max3_f32 v48, v72, v73, v48                              // 000000025108: D1D30030 04C29348
	v_max3_f32 v48, v74, v75, v48                              // 000000025110: D1D30030 04C2974A
	v_max3_f32 v48, v76, v77, v48                              // 000000025118: D1D30030 04C29B4C
	v_max3_f32 v48, v78, v79, v48                              // 000000025120: D1D30030 04C29F4E
	v_mov_b32_e32 v64, 0xff800000                              // 000000025128: 7E8002FF FF800000
	v_cmp_eq_u32_e64 s[40:41], v64, v14                        // 000000025130: D0CA0028 00021D40
	s_nop 1                                                    // 000000025138: BF800001
	v_max_f32_e32 v15, v48, v14                                // 00000002513C: 161E1D30
	v_mul_f32_e32 v53, s64, v15                                // 000000025140: 0A6A1E40
	v_fma_f32 v160, v160, s64, -v53                            // 000000025144: D1CB00A0 84D481A0
	v_fma_f32 v161, v161, s64, -v53                            // 00000002514C: D1CB00A1 84D481A1
	v_fma_f32 v162, v162, s64, -v53                            // 000000025154: D1CB00A2 84D481A2
	v_fma_f32 v163, v163, s64, -v53                            // 00000002515C: D1CB00A3 84D481A3
	v_fma_f32 v164, v164, s64, -v53                            // 000000025164: D1CB00A4 84D481A4
	v_fma_f32 v165, v165, s64, -v53                            // 00000002516C: D1CB00A5 84D481A5
	v_fma_f32 v166, v166, s64, -v53                            // 000000025174: D1CB00A6 84D481A6
	v_fma_f32 v167, v167, s64, -v53                            // 00000002517C: D1CB00A7 84D481A7
	v_fma_f32 v168, v168, s64, -v53                            // 000000025184: D1CB00A8 84D481A8
	v_fma_f32 v169, v169, s64, -v53                            // 00000002518C: D1CB00A9 84D481A9
	v_fma_f32 v170, v170, s64, -v53                            // 000000025194: D1CB00AA 84D481AA
	v_fma_f32 v171, v171, s64, -v53                            // 00000002519C: D1CB00AB 84D481AB
	v_fma_f32 v172, v172, s64, -v53                            // 0000000251A4: D1CB00AC 84D481AC
	v_fma_f32 v173, v173, s64, -v53                            // 0000000251AC: D1CB00AD 84D481AD
	v_fma_f32 v174, v174, s64, -v53                            // 0000000251B4: D1CB00AE 84D481AE
	v_fma_f32 v175, v175, s64, -v53                            // 0000000251BC: D1CB00AF 84D481AF
	v_exp_f32_e32 v160, v160                                   // 0000000251C4: 7F4041A0
	v_exp_f32_e32 v161, v161                                   // 0000000251C8: 7F4241A1
	v_exp_f32_e32 v162, v162                                   // 0000000251CC: 7F4441A2
	v_exp_f32_e32 v163, v163                                   // 0000000251D0: 7F4641A3
	v_exp_f32_e32 v164, v164                                   // 0000000251D4: 7F4841A4
	v_exp_f32_e32 v165, v165                                   // 0000000251D8: 7F4A41A5
	v_exp_f32_e32 v166, v166                                   // 0000000251DC: 7F4C41A6
	v_exp_f32_e32 v167, v167                                   // 0000000251E0: 7F4E41A7
	v_exp_f32_e32 v168, v168                                   // 0000000251E4: 7F5041A8
	v_exp_f32_e32 v169, v169                                   // 0000000251E8: 7F5241A9
	v_exp_f32_e32 v170, v170                                   // 0000000251EC: 7F5441AA
	v_exp_f32_e32 v171, v171                                   // 0000000251F0: 7F5641AB
	v_exp_f32_e32 v172, v172                                   // 0000000251F4: 7F5841AC
	v_exp_f32_e32 v173, v173                                   // 0000000251F8: 7F5A41AD
	v_exp_f32_e32 v174, v174                                   // 0000000251FC: 7F5C41AE
	v_exp_f32_e32 v175, v175                                   // 000000025200: 7F5E41AF
	v_mul_f32_dpp v240, v252, v160 quad_perm:[0,0,0,0] row_mask:0xf bank_mask:0xf// 000000025204: 0BE140FA FF0000FC
	v_mul_f32_dpp v241, v252, v161 quad_perm:[1,1,1,1] row_mask:0xf bank_mask:0xf// 00000002520C: 0BE342FA FF0055FC
	v_mul_f32_dpp v242, v252, v162 quad_perm:[2,2,2,2] row_mask:0xf bank_mask:0xf// 000000025214: 0BE544FA FF00AAFC
	v_mul_f32_dpp v243, v252, v163 quad_perm:[3,3,3,3] row_mask:0xf bank_mask:0xf// 00000002521C: 0BE746FA FF00FFFC
	v_mul_f32_dpp v244, v253, v164 quad_perm:[0,0,0,0] row_mask:0xf bank_mask:0xf// 000000025224: 0BE948FA FF0000FD
	v_mul_f32_dpp v245, v253, v165 quad_perm:[1,1,1,1] row_mask:0xf bank_mask:0xf// 00000002522C: 0BEB4AFA FF0055FD
	v_mul_f32_dpp v246, v253, v166 quad_perm:[2,2,2,2] row_mask:0xf bank_mask:0xf// 000000025234: 0BED4CFA FF00AAFD
	v_mul_f32_dpp v247, v253, v167 quad_perm:[3,3,3,3] row_mask:0xf bank_mask:0xf// 00000002523C: 0BEF4EFA FF00FFFD
	v_mul_f32_dpp v248, v254, v168 quad_perm:[0,0,0,0] row_mask:0xf bank_mask:0xf// 000000025244: 0BF150FA FF0000FE
	v_mul_f32_dpp v249, v254, v169 quad_perm:[1,1,1,1] row_mask:0xf bank_mask:0xf// 00000002524C: 0BF352FA FF0055FE
	v_mul_f32_dpp v250, v254, v170 quad_perm:[2,2,2,2] row_mask:0xf bank_mask:0xf// 000000025254: 0BF554FA FF00AAFE
	v_mul_f32_dpp v251, v254, v171 quad_perm:[3,3,3,3] row_mask:0xf bank_mask:0xf// 00000002525C: 0BF756FA FF00FFFE
	v_mul_f32_dpp v252, v255, v172 quad_perm:[0,0,0,0] row_mask:0xf bank_mask:0xf// 000000025264: 0BF958FA FF0000FF
	v_mul_f32_dpp v253, v255, v173 quad_perm:[1,1,1,1] row_mask:0xf bank_mask:0xf// 00000002526C: 0BFB5AFA FF0055FF
	v_mul_f32_dpp v254, v255, v174 quad_perm:[2,2,2,2] row_mask:0xf bank_mask:0xf// 000000025274: 0BFD5CFA FF00AAFF
	v_mul_f32_dpp v255, v255, v175 quad_perm:[3,3,3,3] row_mask:0xf bank_mask:0xf// 00000002527C: 0BFF5EFA FF00FFFF
	v_mov_b32_e32 v48, 0x358637bd                              // 000000025284: 7E6002FF 358637BD
	v_max3_f32 v48, |v240|, |v241|, v48                        // 00000002528C: D1D30330 04C3E3F0
	v_max3_f32 v48, |v242|, |v243|, v48                        // 000000025294: D1D30330 04C3E7F2
	v_max3_f32 v48, |v244|, |v245|, v48                        // 00000002529C: D1D30330 04C3EBF4
	v_max3_f32 v48, |v246|, |v247|, v48                        // 0000000252A4: D1D30330 04C3EFF6
	v_max3_f32 v48, |v248|, |v249|, v48                        // 0000000252AC: D1D30330 04C3F3F8
	v_max3_f32 v48, |v250|, |v251|, v48                        // 0000000252B4: D1D30330 04C3F7FA
	v_max3_f32 v48, |v252|, |v253|, v48                        // 0000000252BC: D1D30330 04C3FBFC
	v_max3_f32 v48, |v254|, |v255|, v48                        // 0000000252C4: D1D30330 04C3FFFE
	ds_write_b32 v8, v48 offset:20992                          // 0000000252CC: D81A5200 00003008
	v_sub_f32_e32 v52, v14, v15                                // 0000000252D4: 04681F0E
	v_cndmask_b32_e64 v52, v52, 0, s[40:41]                    // 0000000252D8: D1000034 00A10134
	v_mov_b32_e32 v14, v15                                     // 0000000252E0: 7E1C030F
	v_mul_f32_e32 v52, s64, v52                                // 0000000252E4: 0A686840
	v_exp_f32_e32 v52, v52                                     // 0000000252E8: 7E684134
	s_waitcnt lgkmcnt(0)                                       // 0000000252EC: BF8CC07F
	s_barrier                                                  // 0000000252F0: BF8A0000
	ds_read_b32 v64, v7 offset:20992                           // 0000000252F4: D86C5200 40000007
	ds_read_b32 v65, v7 offset:21056                           // 0000000252FC: D86C5240 41000007
	ds_read_b32 v66, v7 offset:21120                           // 000000025304: D86C5280 42000007
	ds_read_b32 v67, v7 offset:21184                           // 00000002530C: D86C52C0 43000007
	ds_read_b32 v68, v7 offset:21248                           // 000000025314: D86C5300 44000007
	ds_read_b32 v69, v7 offset:21312                           // 00000002531C: D86C5340 45000007
	ds_read_b32 v70, v7 offset:21376                           // 000000025324: D86C5380 46000007
	ds_read_b32 v71, v7 offset:21440                           // 00000002532C: D86C53C0 47000007
	ds_read_b32 v72, v7 offset:21504                           // 000000025334: D86C5400 48000007
	ds_read_b32 v73, v7 offset:21568                           // 00000002533C: D86C5440 49000007
	ds_read_b32 v74, v7 offset:21632                           // 000000025344: D86C5480 4A000007
	ds_read_b32 v75, v7 offset:21696                           // 00000002534C: D86C54C0 4B000007
	ds_read_b32 v76, v7 offset:21760                           // 000000025354: D86C5500 4C000007
	ds_read_b32 v77, v7 offset:21824                           // 00000002535C: D86C5540 4D000007
	ds_read_b32 v78, v7 offset:21888                           // 000000025364: D86C5580 4E000007
	ds_read_b32 v79, v7 offset:21952                           // 00000002536C: D86C55C0 4F000007
	v_mul_f32_e32 v41, v52, v41                                // 000000025374: 0A525334
	v_mov_b32_e32 v15, v160                                    // 000000025378: 7E1E03A0
	v_add_f32_e32 v15, v161, v15                               // 00000002537C: 021E1FA1
	v_add_f32_e32 v15, v162, v15                               // 000000025380: 021E1FA2
	v_add_f32_e32 v15, v163, v15                               // 000000025384: 021E1FA3
	v_add_f32_e32 v15, v164, v15                               // 000000025388: 021E1FA4
	v_add_f32_e32 v15, v165, v15                               // 00000002538C: 021E1FA5
	v_add_f32_e32 v15, v166, v15                               // 000000025390: 021E1FA6
	v_add_f32_e32 v15, v167, v15                               // 000000025394: 021E1FA7
	v_add_f32_e32 v15, v168, v15                               // 000000025398: 021E1FA8
	v_add_f32_e32 v15, v169, v15                               // 00000002539C: 021E1FA9
	v_add_f32_e32 v15, v170, v15                               // 0000000253A0: 021E1FAA
	v_add_f32_e32 v15, v171, v15                               // 0000000253A4: 021E1FAB
	v_add_f32_e32 v15, v172, v15                               // 0000000253A8: 021E1FAC
	v_add_f32_e32 v15, v173, v15                               // 0000000253AC: 021E1FAD
	v_add_f32_e32 v15, v174, v15                               // 0000000253B0: 021E1FAE
	v_add_f32_e32 v15, v175, v15                               // 0000000253B4: 021E1FAF
	v_add_f32_e32 v41, v15, v41                                // 0000000253B8: 0252530F
	s_waitcnt lgkmcnt(0)                                       // 0000000253BC: BF8CC07F
	v_max3_f32 v48, |v64|, |v65|, v48                          // 0000000253C0: D1D30330 04C28340
	v_max3_f32 v48, |v66|, |v67|, v48                          // 0000000253C8: D1D30330 04C28742
	v_max3_f32 v48, |v68|, |v69|, v48                          // 0000000253D0: D1D30330 04C28B44
	v_max3_f32 v48, |v70|, |v71|, v48                          // 0000000253D8: D1D30330 04C28F46
	v_max3_f32 v48, |v72|, |v73|, v48                          // 0000000253E0: D1D30330 04C29348
	v_max3_f32 v48, |v74|, |v75|, v48                          // 0000000253E8: D1D30330 04C2974A
	v_max3_f32 v48, |v76|, |v77|, v48                          // 0000000253F0: D1D30330 04C29B4C
	v_max3_f32 v48, |v78|, |v79|, v48                          // 0000000253F8: D1D30330 04C29F4E
	s_nop 2                                                    // 000000025400: BF800002
	v_rcp_f32_e32 v48, v48                                     // 000000025404: 7E604530
	s_nop 1                                                    // 000000025408: BF800001
	v_mul_f32_e32 v48, 0x43e00000, v48                         // 00000002540C: 0A6060FF 43E00000
	v_mul_f32_e32 v160, v48, v240                              // 000000025414: 0B41E130
	v_mul_f32_e32 v161, v48, v241                              // 000000025418: 0B43E330
	v_mul_f32_e32 v162, v48, v242                              // 00000002541C: 0B45E530
	v_mul_f32_e32 v163, v48, v243                              // 000000025420: 0B47E730
	v_mul_f32_e32 v164, v48, v244                              // 000000025424: 0B49E930
	v_mul_f32_e32 v165, v48, v245                              // 000000025428: 0B4BEB30
	v_mul_f32_e32 v166, v48, v246                              // 00000002542C: 0B4DED30
	v_mul_f32_e32 v167, v48, v247                              // 000000025430: 0B4FEF30
	v_mul_f32_e32 v168, v48, v248                              // 000000025434: 0B51F130
	v_mul_f32_e32 v169, v48, v249                              // 000000025438: 0B53F330
	v_mul_f32_e32 v170, v48, v250                              // 00000002543C: 0B55F530
	v_mul_f32_e32 v171, v48, v251                              // 000000025440: 0B57F730
	v_mul_f32_e32 v172, v48, v252                              // 000000025444: 0B59F930
	v_mul_f32_e32 v173, v48, v253                              // 000000025448: 0B5BFB30
	v_mul_f32_e32 v174, v48, v254                              // 00000002544C: 0B5DFD30
	v_mul_f32_e32 v175, v48, v255                              // 000000025450: 0B5FFF30
	v_cvt_pk_fp8_f32 v160, v160, v161                          // 000000025454: D2A200A0 000343A0
	v_cvt_pk_fp8_f32 v160, v162, v163 op_sel:[0,0,1]           // 00000002545C: D2A240A0 000347A2
	v_cvt_pk_fp8_f32 v161, v164, v165                          // 000000025464: D2A200A1 00034BA4
	v_cvt_pk_fp8_f32 v161, v166, v167 op_sel:[0,0,1]           // 00000002546C: D2A240A1 00034FA6
	v_cvt_pk_fp8_f32 v162, v168, v169                          // 000000025474: D2A200A2 000353A8
	v_cvt_pk_fp8_f32 v162, v170, v171 op_sel:[0,0,1]           // 00000002547C: D2A240A2 000357AA
	v_cvt_pk_fp8_f32 v163, v172, v173                          // 000000025484: D2A200A3 00035BAC
	v_cvt_pk_fp8_f32 v163, v174, v175 op_sel:[0,0,1]           // 00000002548C: D2A240A3 00035FAE
	ds_write_b32 v10, v160 offset:37376                        // 000000025494: D81A9200 0000A00A
	ds_write_b32 v10, v161 offset:38400                        // 00000002549C: D81A9600 0000A10A
	ds_write_b32 v10, v162 offset:39424                        // 0000000254A4: D81A9A00 0000A20A
	ds_write_b32 v10, v163 offset:40448                        // 0000000254AC: D81A9E00 0000A30A
	v_add_f32_e32 v232, v232, v200                             // 0000000254B4: 03D191E8
	v_add_f32_e32 v233, v233, v201                             // 0000000254B8: 03D393E9
	v_add_f32_e32 v234, v234, v202                             // 0000000254BC: 03D595EA
	v_add_f32_e32 v235, v235, v203                             // 0000000254C0: 03D797EB
	v_add_f32_e32 v236, v236, v204                             // 0000000254C4: 03D999EC
	v_add_f32_e32 v237, v237, v205                             // 0000000254C8: 03DB9BED
	v_add_f32_e32 v238, v238, v206                             // 0000000254CC: 03DD9DEE
	v_add_f32_e32 v239, v239, v207                             // 0000000254D0: 03DF9FEF
	v_rcp_f32_e32 v47, v48                                     // 0000000254D4: 7E5E4530
	s_waitcnt lgkmcnt(0)                                       // 0000000254D8: BF8CC07F
	s_barrier                                                  // 0000000254DC: BF8A0000
	ds_read_b64 v[160:161], v9 offset:37376                    // 0000000254E0: D8EC9200 A0000009
	ds_read_b64 v[162:163], v9 offset:37504                    // 0000000254E8: D8EC9280 A2000009
	ds_read_b64 v[164:165], v9 offset:38400                    // 0000000254F0: D8EC9600 A4000009
	ds_read_b64 v[166:167], v9 offset:38528                    // 0000000254F8: D8EC9680 A6000009
	ds_read_b64 v[168:169], v9 offset:39424                    // 000000025500: D8EC9A00 A8000009
	ds_read_b64 v[170:171], v9 offset:39552                    // 000000025508: D8EC9A80 AA000009
	ds_read_b64 v[172:173], v9 offset:40448                    // 000000025510: D8EC9E00 AC000009
	ds_read_b64 v[174:175], v9 offset:40576                    // 000000025518: D8EC9E80 AE000009
	s_waitcnt vmcnt(15)                                        // 000000025520: BF8C0F7F
	v_mfma_f32_16x16x32_fp8_fp8 v[176:179], a[64:65], v[112:113], 0// 000000025524: D3F300B0 0A02E140
	buffer_load_dwordx4 a[112:115], v34, s[20:23], 0 offen offset:1024// 00000002552C: E05C1400 80857022
	v_mfma_f32_16x16x32_fp8_fp8 v[176:179], a[66:67], v[114:115], v[176:179]// 000000025534: D3F300B0 0EC2E542
	v_mfma_f32_16x16x32_fp8_fp8 v[176:179], a[68:69], v[116:117], v[176:179]// 00000002553C: D3F300B0 0EC2E944
	v_mfma_f32_16x16x32_fp8_fp8 v[176:179], a[70:71], v[118:119], v[176:179]// 000000025544: D3F300B0 0EC2ED46
	v_mfma_f32_16x16x32_fp8_fp8 v[176:179], a[72:73], v[120:121], v[176:179]// 00000002554C: D3F300B0 0EC2F148
	buffer_load_dwordx4 a[116:119], v35, s[20:23], 0 offen offset:1024// 000000025554: E05C1400 80857423
	v_mfma_f32_16x16x32_fp8_fp8 v[176:179], a[74:75], v[122:123], v[176:179]// 00000002555C: D3F300B0 0EC2F54A
	v_mfma_f32_16x16x32_fp8_fp8 v[176:179], a[76:77], v[124:125], v[176:179]// 000000025564: D3F300B0 0EC2F94C
	v_mfma_f32_16x16x32_fp8_fp8 v[176:179], a[78:79], v[126:127], v[176:179]// 00000002556C: D3F300B0 0EC2FD4E
	v_mfma_f32_16x16x32_fp8_fp8 v[180:183], a[80:81], v[112:113], 0// 000000025574: D3F300B4 0A02E150
	buffer_load_dwordx4 a[120:123], v36, s[20:23], 0 offen offset:1024// 00000002557C: E05C1400 80857824
	v_mfma_f32_16x16x32_fp8_fp8 v[180:183], a[82:83], v[114:115], v[180:183]// 000000025584: D3F300B4 0ED2E552
	v_mfma_f32_16x16x32_fp8_fp8 v[180:183], a[84:85], v[116:117], v[180:183]// 00000002558C: D3F300B4 0ED2E954
	v_mfma_f32_16x16x32_fp8_fp8 v[180:183], a[86:87], v[118:119], v[180:183]// 000000025594: D3F300B4 0ED2ED56
	v_mfma_f32_16x16x32_fp8_fp8 v[180:183], a[88:89], v[120:121], v[180:183]// 00000002559C: D3F300B4 0ED2F158
	buffer_load_dwordx4 a[124:127], v37, s[20:23], 0 offen offset:1024// 0000000255A4: E05C1400 80857C25
	v_mfma_f32_16x16x32_fp8_fp8 v[180:183], a[90:91], v[122:123], v[180:183]// 0000000255AC: D3F300B4 0ED2F55A
	v_mfma_f32_16x16x32_fp8_fp8 v[180:183], a[92:93], v[124:125], v[180:183]// 0000000255B4: D3F300B4 0ED2F95C
	s_lshr_b32 s57, s70, 4                                     // 0000000255BC: 8F398446
	s_add_u32 s57, 48, s57                                     // 0000000255C0: 803939B0
	v_mfma_f32_16x16x32_fp8_fp8 v[180:183], a[94:95], v[126:127], v[180:183]// 0000000255C4: D3F300B4 0ED2FD5E
	s_cmp_ge_u32 s57, s73                                      // 0000000255CC: BF094939
	s_cselect_b32 s56, 0, s56                                  // 0000000255D0: 85383880
	v_mfma_f32_16x16x32_fp8_fp8 v[184:187], a[64:65], v[128:129], 0// 0000000255D4: D3F300B8 0A030140
	v_mfma_f32_16x16x32_fp8_fp8 v[184:187], a[66:67], v[130:131], v[184:187]// 0000000255DC: D3F300B8 0EE30542
	v_mfma_f32_16x16x32_fp8_fp8 v[184:187], a[68:69], v[132:133], v[184:187]// 0000000255E4: D3F300B8 0EE30944
	v_mfma_f32_16x16x32_fp8_fp8 v[184:187], a[70:71], v[134:135], v[184:187]// 0000000255EC: D3F300B8 0EE30D46
	v_mfma_f32_16x16x32_fp8_fp8 v[184:187], a[72:73], v[136:137], v[184:187]// 0000000255F4: D3F300B8 0EE31148
	v_mfma_f32_16x16x32_fp8_fp8 v[184:187], a[74:75], v[138:139], v[184:187]// 0000000255FC: D3F300B8 0EE3154A
	v_mfma_f32_16x16x32_fp8_fp8 v[184:187], a[76:77], v[140:141], v[184:187]// 000000025604: D3F300B8 0EE3194C
	v_mfma_f32_16x16x32_fp8_fp8 v[184:187], a[78:79], v[142:143], v[184:187]// 00000002560C: D3F300B8 0EE31D4E
	v_mfma_f32_16x16x32_fp8_fp8 v[188:191], a[80:81], v[128:129], 0// 000000025614: D3F300BC 0A030150
	v_mfma_f32_16x16x32_fp8_fp8 v[188:191], a[82:83], v[130:131], v[188:191]// 00000002561C: D3F300BC 0EF30552
	v_mfma_f32_16x16x32_fp8_fp8 v[188:191], a[84:85], v[132:133], v[188:191]// 000000025624: D3F300BC 0EF30954
	v_mfma_f32_16x16x32_fp8_fp8 v[188:191], a[86:87], v[134:135], v[188:191]// 00000002562C: D3F300BC 0EF30D56
	v_mfma_f32_16x16x32_fp8_fp8 v[188:191], a[88:89], v[136:137], v[188:191]// 000000025634: D3F300BC 0EF31158
	v_mfma_f32_16x16x32_fp8_fp8 v[188:191], a[90:91], v[138:139], v[188:191]// 00000002563C: D3F300BC 0EF3155A
	v_mfma_f32_16x16x32_fp8_fp8 v[188:191], a[92:93], v[140:141], v[188:191]// 000000025644: D3F300BC 0EF3195C
	v_mfma_f32_16x16x32_fp8_fp8 v[188:191], a[94:95], v[142:143], v[188:191]// 00000002564C: D3F300BC 0EF31D5E
	v_mfma_f32_16x16x32_fp8_fp8 v[192:195], a[64:65], v[144:145], 0// 000000025654: D3F300C0 0A032140
	v_mfma_f32_16x16x32_fp8_fp8 v[192:195], a[66:67], v[146:147], v[192:195]// 00000002565C: D3F300C0 0F032542
	v_mfma_f32_16x16x32_fp8_fp8 v[192:195], a[68:69], v[148:149], v[192:195]// 000000025664: D3F300C0 0F032944
	v_mfma_f32_16x16x32_fp8_fp8 v[192:195], a[70:71], v[150:151], v[192:195]// 00000002566C: D3F300C0 0F032D46
	v_mfma_f32_16x16x32_fp8_fp8 v[192:195], a[72:73], v[152:153], v[192:195]// 000000025674: D3F300C0 0F033148
	v_mfma_f32_16x16x32_fp8_fp8 v[192:195], a[74:75], v[154:155], v[192:195]// 00000002567C: D3F300C0 0F03354A
	v_mfma_f32_16x16x32_fp8_fp8 v[192:195], a[76:77], v[156:157], v[192:195]// 000000025684: D3F300C0 0F03394C
	v_mfma_f32_16x16x32_fp8_fp8 v[192:195], a[78:79], v[158:159], v[192:195]// 00000002568C: D3F300C0 0F033D4E
	v_mfma_f32_16x16x32_fp8_fp8 v[196:199], a[80:81], v[144:145], 0// 000000025694: D3F300C4 0A032150
	v_mfma_f32_16x16x32_fp8_fp8 v[196:199], a[82:83], v[146:147], v[196:199]// 00000002569C: D3F300C4 0F132552
	v_mfma_f32_16x16x32_fp8_fp8 v[196:199], a[84:85], v[148:149], v[196:199]// 0000000256A4: D3F300C4 0F132954
	v_mfma_f32_16x16x32_fp8_fp8 v[196:199], a[86:87], v[150:151], v[196:199]// 0000000256AC: D3F300C4 0F132D56
	v_mfma_f32_16x16x32_fp8_fp8 v[196:199], a[88:89], v[152:153], v[196:199]// 0000000256B4: D3F300C4 0F133158
	v_mfma_f32_16x16x32_fp8_fp8 v[196:199], a[90:91], v[154:155], v[196:199]// 0000000256BC: D3F300C4 0F13355A
	v_mfma_f32_16x16x32_fp8_fp8 v[196:199], a[92:93], v[156:157], v[196:199]// 0000000256C4: D3F300C4 0F13395C
	v_mfma_f32_16x16x32_fp8_fp8 v[196:199], a[94:95], v[158:159], v[196:199]// 0000000256CC: D3F300C4 0F133D5E
	v_mfma_f32_16x16x32_fp8_fp8 v[200:203], a[64:65], v[160:161], 0// 0000000256D4: D3F300C8 0A034140
	v_mfma_f32_16x16x32_fp8_fp8 v[200:203], a[66:67], v[162:163], v[200:203]// 0000000256DC: D3F300C8 0F234542
	v_mfma_f32_16x16x32_fp8_fp8 v[200:203], a[68:69], v[164:165], v[200:203]// 0000000256E4: D3F300C8 0F234944
	v_mfma_f32_16x16x32_fp8_fp8 v[200:203], a[70:71], v[166:167], v[200:203]// 0000000256EC: D3F300C8 0F234D46
	v_mfma_f32_16x16x32_fp8_fp8 v[200:203], a[72:73], v[168:169], v[200:203]// 0000000256F4: D3F300C8 0F235148
	v_mfma_f32_16x16x32_fp8_fp8 v[200:203], a[74:75], v[170:171], v[200:203]// 0000000256FC: D3F300C8 0F23554A
	v_mfma_f32_16x16x32_fp8_fp8 v[200:203], a[76:77], v[172:173], v[200:203]// 000000025704: D3F300C8 0F23594C
	v_mfma_f32_16x16x32_fp8_fp8 v[200:203], a[78:79], v[174:175], v[200:203]// 00000002570C: D3F300C8 0F235D4E
	v_mfma_f32_16x16x32_fp8_fp8 v[204:207], a[80:81], v[160:161], 0// 000000025714: D3F300CC 0A034150
	v_mfma_f32_16x16x32_fp8_fp8 v[204:207], a[82:83], v[162:163], v[204:207]// 00000002571C: D3F300CC 0F334552
	v_mfma_f32_16x16x32_fp8_fp8 v[204:207], a[84:85], v[164:165], v[204:207]// 000000025724: D3F300CC 0F334954
	v_mfma_f32_16x16x32_fp8_fp8 v[204:207], a[86:87], v[166:167], v[204:207]// 00000002572C: D3F300CC 0F334D56
	v_mfma_f32_16x16x32_fp8_fp8 v[204:207], a[88:89], v[168:169], v[204:207]// 000000025734: D3F300CC 0F335158
	v_mfma_f32_16x16x32_fp8_fp8 v[204:207], a[90:91], v[170:171], v[204:207]// 00000002573C: D3F300CC 0F33555A
	v_mfma_f32_16x16x32_fp8_fp8 v[204:207], a[92:93], v[172:173], v[204:207]// 000000025744: D3F300CC 0F33595C
	v_mfma_f32_16x16x32_fp8_fp8 v[204:207], a[94:95], v[174:175], v[204:207]// 00000002574C: D3F300CC 0F335D5E
	v_add_u32_e32 v1, s56, v1                                  // 000000025754: 68020238
	s_addk_i32 s70, 0x100                                      // 000000025758: B7460100
	s_cmp_lt_i32 s70, s71                                      // 00000002575C: BF044746
	s_cbranch_scc0 label_835B                                  // 000000025760: BF84F602
	s_waitcnt vmcnt(8) lgkmcnt(0)                              // 000000025764: BF8C0078
	v_mul_u32_u24_dpp v64, v16, v54 row_newbcast:0 row_mask:0xf bank_mask:0xf// 000000025768: 10806CFA FF015010
	v_mul_u32_u24_dpp v65, v16, v54 row_newbcast:4 row_mask:0xf bank_mask:0xf// 000000025770: 10826CFA FF015410
	v_mul_u32_u24_dpp v66, v16, v54 row_newbcast:8 row_mask:0xf bank_mask:0xf// 000000025778: 10846CFA FF015810
	v_mul_u32_u24_dpp v67, v16, v54 row_newbcast:12 row_mask:0xf bank_mask:0xf// 000000025780: 10866CFA FF015C10
	v_add_u32_e32 v22, v64, v5                                 // 000000025788: 682C0B40
	v_add_u32_e32 v23, v65, v5                                 // 00000002578C: 682E0B41
	v_add_u32_e32 v24, v66, v5                                 // 000000025790: 68300B42
	v_add_u32_e32 v25, v67, v5                                 // 000000025794: 68320B43
	v_mul_u32_u24_dpp v64, v16, v63 quad_perm:[0,0,0,0] row_mask:0xf bank_mask:0xf// 000000025798: 10807EFA FF000010
	v_add_u32_e32 v2, v64, v59                                 // 0000000257A0: 68047740
	v_mul_u32_u24_dpp v64, v16, v63 quad_perm:[0,0,0,0] row_mask:0xf bank_mask:0xf// 0000000257A4: 10807EFA FF000010
	v_add_u32_e32 v55, v64, v60                                // 0000000257AC: 686E7940
	v_mfma_f32_16x16x32_fp8_fp8 v[112:115], a[32:33], v[80:81], 0// 0000000257B0: D3F30070 0A02A120
	buffer_load_dwordx4 a[0:3], v22, s[16:19], 0 offen         // 0000000257B8: E05C1000 80840016
	v_mfma_f32_16x16x32_fp8_fp8 v[112:115], a[34:35], v[82:83], v[112:115]// 0000000257C0: D3F30070 0DC2A522
	v_mfma_f32_16x16x32_fp8_fp8 v[112:115], a[36:37], v[84:85], v[112:115]// 0000000257C8: D3F30070 0DC2A924
	buffer_load_dword v17, v1, s[24:27], 0 offen               // 0000000257D0: E0501000 80061101
	v_mfma_f32_16x16x32_fp8_fp8 v[112:115], a[38:39], v[86:87], v[112:115]// 0000000257D8: D3F30070 0DC2AD26
	v_mfma_f32_16x16x32_fp8_fp8 v[116:119], a[40:41], v[80:81], 0// 0000000257E0: D3F30074 0A02A128
	buffer_load_dwordx4 a[4:7], v22, s[16:19], 0 offen offset:1024// 0000000257E8: E05C1400 80840416
	v_mfma_f32_16x16x32_fp8_fp8 v[116:119], a[42:43], v[82:83], v[116:119]// 0000000257F0: D3F30074 0DD2A52A
	v_mfma_f32_16x16x32_fp8_fp8 v[116:119], a[44:45], v[84:85], v[116:119]// 0000000257F8: D3F30074 0DD2A92C
	v_mfma_f32_16x16x32_fp8_fp8 v[116:119], a[46:47], v[86:87], v[116:119]// 000000025800: D3F30074 0DD2AD2E
	v_mfma_f32_16x16x32_fp8_fp8 v[120:123], a[48:49], v[80:81], 0// 000000025808: D3F30078 0A02A130
	buffer_load_dwordx4 a[8:11], v23, s[16:19], 0 offen        // 000000025810: E05C1000 80840817
	v_mfma_f32_16x16x32_fp8_fp8 v[120:123], a[50:51], v[82:83], v[120:123]// 000000025818: D3F30078 0DE2A532
	v_mfma_f32_16x16x32_fp8_fp8 v[120:123], a[52:53], v[84:85], v[120:123]// 000000025820: D3F30078 0DE2A934
	v_mfma_f32_16x16x32_fp8_fp8 v[120:123], a[54:55], v[86:87], v[120:123]// 000000025828: D3F30078 0DE2AD36
	v_mfma_f32_16x16x32_fp8_fp8 v[124:127], a[56:57], v[80:81], 0// 000000025830: D3F3007C 0A02A138
	buffer_load_dwordx4 a[12:15], v23, s[16:19], 0 offen offset:1024// 000000025838: E05C1400 80840C17
	v_mfma_f32_16x16x32_fp8_fp8 v[124:127], a[58:59], v[82:83], v[124:127]// 000000025840: D3F3007C 0DF2A53A
	v_mfma_f32_16x16x32_fp8_fp8 v[124:127], a[60:61], v[84:85], v[124:127]// 000000025848: D3F3007C 0DF2A93C
	v_mfma_f32_16x16x32_fp8_fp8 v[124:127], a[62:63], v[86:87], v[124:127]// 000000025850: D3F3007C 0DF2AD3E
	v_mfma_f32_16x16x32_fp8_fp8 v[128:131], a[32:33], v[88:89], 0// 000000025858: D3F30080 0A02B120
	v_mfma_f32_16x16x32_fp8_fp8 v[128:131], a[34:35], v[90:91], v[128:131]// 000000025860: D3F30080 0E02B522
	v_mfma_f32_16x16x32_fp8_fp8 v[128:131], a[36:37], v[92:93], v[128:131]// 000000025868: D3F30080 0E02B924
	v_mfma_f32_16x16x32_fp8_fp8 v[128:131], a[38:39], v[94:95], v[128:131]// 000000025870: D3F30080 0E02BD26
	v_mfma_f32_16x16x32_fp8_fp8 v[132:135], a[40:41], v[88:89], 0// 000000025878: D3F30084 0A02B128
	v_mfma_f32_16x16x32_fp8_fp8 v[132:135], a[42:43], v[90:91], v[132:135]// 000000025880: D3F30084 0E12B52A
	v_mfma_f32_16x16x32_fp8_fp8 v[132:135], a[44:45], v[92:93], v[132:135]// 000000025888: D3F30084 0E12B92C
	v_mfma_f32_16x16x32_fp8_fp8 v[132:135], a[46:47], v[94:95], v[132:135]// 000000025890: D3F30084 0E12BD2E
	v_mfma_f32_16x16x32_fp8_fp8 v[136:139], a[48:49], v[88:89], 0// 000000025898: D3F30088 0A02B130
	v_mfma_f32_16x16x32_fp8_fp8 v[136:139], a[50:51], v[90:91], v[136:139]// 0000000258A0: D3F30088 0E22B532
	v_mfma_f32_16x16x32_fp8_fp8 v[136:139], a[52:53], v[92:93], v[136:139]// 0000000258A8: D3F30088 0E22B934
	v_mfma_f32_16x16x32_fp8_fp8 v[136:139], a[54:55], v[94:95], v[136:139]// 0000000258B0: D3F30088 0E22BD36
	v_mfma_f32_16x16x32_fp8_fp8 v[140:143], a[56:57], v[88:89], 0// 0000000258B8: D3F3008C 0A02B138
	v_mfma_f32_16x16x32_fp8_fp8 v[140:143], a[58:59], v[90:91], v[140:143]// 0000000258C0: D3F3008C 0E32B53A
	v_mfma_f32_16x16x32_fp8_fp8 v[140:143], a[60:61], v[92:93], v[140:143]// 0000000258C8: D3F3008C 0E32B93C
	v_mfma_f32_16x16x32_fp8_fp8 v[140:143], a[62:63], v[94:95], v[140:143]// 0000000258D0: D3F3008C 0E32BD3E
	v_mfma_f32_16x16x32_fp8_fp8 v[144:147], a[32:33], v[96:97], 0// 0000000258D8: D3F30090 0A02C120
	v_mfma_f32_16x16x32_fp8_fp8 v[144:147], a[34:35], v[98:99], v[144:147]// 0000000258E0: D3F30090 0E42C522
	v_mfma_f32_16x16x32_fp8_fp8 v[144:147], a[36:37], v[100:101], v[144:147]// 0000000258E8: D3F30090 0E42C924
	v_mfma_f32_16x16x32_fp8_fp8 v[144:147], a[38:39], v[102:103], v[144:147]// 0000000258F0: D3F30090 0E42CD26
	v_mfma_f32_16x16x32_fp8_fp8 v[148:151], a[40:41], v[96:97], 0// 0000000258F8: D3F30094 0A02C128
	v_mfma_f32_16x16x32_fp8_fp8 v[148:151], a[42:43], v[98:99], v[148:151]// 000000025900: D3F30094 0E52C52A
	v_mfma_f32_16x16x32_fp8_fp8 v[148:151], a[44:45], v[100:101], v[148:151]// 000000025908: D3F30094 0E52C92C
	v_mfma_f32_16x16x32_fp8_fp8 v[148:151], a[46:47], v[102:103], v[148:151]// 000000025910: D3F30094 0E52CD2E
	v_mfma_f32_16x16x32_fp8_fp8 v[152:155], a[48:49], v[96:97], 0// 000000025918: D3F30098 0A02C130
	v_mfma_f32_16x16x32_fp8_fp8 v[152:155], a[50:51], v[98:99], v[152:155]// 000000025920: D3F30098 0E62C532
	v_mfma_f32_16x16x32_fp8_fp8 v[152:155], a[52:53], v[100:101], v[152:155]// 000000025928: D3F30098 0E62C934
	v_mfma_f32_16x16x32_fp8_fp8 v[152:155], a[54:55], v[102:103], v[152:155]// 000000025930: D3F30098 0E62CD36
	v_mfma_f32_16x16x32_fp8_fp8 v[156:159], a[56:57], v[96:97], 0// 000000025938: D3F3009C 0A02C138
	v_mfma_f32_16x16x32_fp8_fp8 v[156:159], a[58:59], v[98:99], v[156:159]// 000000025940: D3F3009C 0E72C53A
	v_mfma_f32_16x16x32_fp8_fp8 v[156:159], a[60:61], v[100:101], v[156:159]// 000000025948: D3F3009C 0E72C93C
	v_mfma_f32_16x16x32_fp8_fp8 v[156:159], a[62:63], v[102:103], v[156:159]// 000000025950: D3F3009C 0E72CD3E
	v_mfma_f32_16x16x32_fp8_fp8 v[160:163], a[32:33], v[104:105], 0// 000000025958: D3F300A0 0A02D120
	v_mfma_f32_16x16x32_fp8_fp8 v[160:163], a[34:35], v[106:107], v[160:163]// 000000025960: D3F300A0 0E82D522
	v_mfma_f32_16x16x32_fp8_fp8 v[160:163], a[36:37], v[108:109], v[160:163]// 000000025968: D3F300A0 0E82D924
	v_mfma_f32_16x16x32_fp8_fp8 v[160:163], a[38:39], v[110:111], v[160:163]// 000000025970: D3F300A0 0E82DD26
	v_mfma_f32_16x16x32_fp8_fp8 v[164:167], a[40:41], v[104:105], 0// 000000025978: D3F300A4 0A02D128
	v_mfma_f32_16x16x32_fp8_fp8 v[164:167], a[42:43], v[106:107], v[164:167]// 000000025980: D3F300A4 0E92D52A
	v_mfma_f32_16x16x32_fp8_fp8 v[164:167], a[44:45], v[108:109], v[164:167]// 000000025988: D3F300A4 0E92D92C
	v_mfma_f32_16x16x32_fp8_fp8 v[164:167], a[46:47], v[110:111], v[164:167]// 000000025990: D3F300A4 0E92DD2E
	v_mfma_f32_16x16x32_fp8_fp8 v[168:171], a[48:49], v[104:105], 0// 000000025998: D3F300A8 0A02D130
	v_mfma_f32_16x16x32_fp8_fp8 v[168:171], a[50:51], v[106:107], v[168:171]// 0000000259A0: D3F300A8 0EA2D532
	v_mfma_f32_16x16x32_fp8_fp8 v[168:171], a[52:53], v[108:109], v[168:171]// 0000000259A8: D3F300A8 0EA2D934
	v_mfma_f32_16x16x32_fp8_fp8 v[168:171], a[54:55], v[110:111], v[168:171]// 0000000259B0: D3F300A8 0EA2DD36
	v_mfma_f32_16x16x32_fp8_fp8 v[172:175], a[56:57], v[104:105], 0// 0000000259B8: D3F300AC 0A02D138
	v_mfma_f32_16x16x32_fp8_fp8 v[172:175], a[58:59], v[106:107], v[172:175]// 0000000259C0: D3F300AC 0EB2D53A
	v_mfma_f32_16x16x32_fp8_fp8 v[172:175], a[60:61], v[108:109], v[172:175]// 0000000259C8: D3F300AC 0EB2D93C
	v_mfma_f32_16x16x32_fp8_fp8 v[172:175], a[62:63], v[110:111], v[172:175]// 0000000259D0: D3F300AC 0EB2DD3E
	buffer_load_dword v42, v2, s[32:35], 0 offen               // 0000000259D8: E0501000 80082A02
	v_mov_b32_dpp v64, v43 row_shr:4 row_mask:0xf bank_mask:0xf// 0000000259E0: 7E8002FA FF01142B
	v_mov_b32_dpp v65, v43 row_shl:4 row_mask:0xf bank_mask:0xf// 0000000259E8: 7E8202FA FF01042B
	v_cndmask_b32_e64 v248, v43, v64, s[44:45]                 // 0000000259F0: D10000F8 00B2812B
	v_cndmask_b32_e64 v249, v65, v43, s[44:45]                 // 0000000259F8: D10000F9 00B25741
	v_mov_b32_dpp v64, v248 row_shr:8 row_mask:0xf bank_mask:0xf// 000000025A00: 7E8002FA FF0118F8
	v_mov_b32_dpp v65, v248 row_shl:8 row_mask:0xf bank_mask:0xf// 000000025A08: 7E8202FA FF0108F8
	v_mov_b32_dpp v66, v249 row_shr:8 row_mask:0xf bank_mask:0xf// 000000025A10: 7E8402FA FF0118F9
	v_mov_b32_dpp v67, v249 row_shl:8 row_mask:0xf bank_mask:0xf// 000000025A18: 7E8602FA FF0108F9
	v_mov_b32_e32 v68, v248                                    // 000000025A20: 7E8803F8
	v_mov_b32_e32 v69, v249                                    // 000000025A24: 7E8A03F9
	v_cndmask_b32_e64 v248, v68, v64, s[42:43]                 // 000000025A28: D10000F8 00AA8144
	v_cndmask_b32_e64 v250, v68, v65, s[78:79]                 // 000000025A30: D10000FA 013A8344
	v_cndmask_b32_e64 v249, v69, v66, s[42:43]                 // 000000025A38: D10000F9 00AA8545
	v_cndmask_b32_e64 v251, v69, v67, s[78:79]                 // 000000025A40: D10000FB 013A8745
	v_mov_b32_dpp v64, v58 row_shr:4 row_mask:0xf bank_mask:0xf// 000000025A48: 7E8002FA FF01143A
	v_mov_b32_dpp v65, v58 row_shl:4 row_mask:0xf bank_mask:0xf// 000000025A50: 7E8202FA FF01043A
	v_cndmask_b32_e64 v252, v58, v64, s[44:45]                 // 000000025A58: D10000FC 00B2813A
	v_cndmask_b32_e64 v253, v65, v58, s[44:45]                 // 000000025A60: D10000FD 00B27541
	v_mov_b32_dpp v64, v252 row_shr:8 row_mask:0xf bank_mask:0xf// 000000025A68: 7E8002FA FF0118FC
	v_mov_b32_dpp v65, v252 row_shl:8 row_mask:0xf bank_mask:0xf// 000000025A70: 7E8202FA FF0108FC
	v_mov_b32_dpp v66, v253 row_shr:8 row_mask:0xf bank_mask:0xf// 000000025A78: 7E8402FA FF0118FD
	v_mov_b32_dpp v67, v253 row_shl:8 row_mask:0xf bank_mask:0xf// 000000025A80: 7E8602FA FF0108FD
	v_mov_b32_e32 v68, v252                                    // 000000025A88: 7E8803FC
	v_mov_b32_e32 v69, v253                                    // 000000025A8C: 7E8A03FD
	v_cndmask_b32_e64 v252, v68, v64, s[42:43]                 // 000000025A90: D10000FC 00AA8144
	v_cndmask_b32_e64 v254, v68, v65, s[78:79]                 // 000000025A98: D10000FE 013A8344
	v_cndmask_b32_e64 v253, v69, v66, s[42:43]                 // 000000025AA0: D10000FD 00AA8545
	v_cndmask_b32_e64 v255, v69, v67, s[78:79]                 // 000000025AA8: D10000FF 013A8745
	buffer_load_dword v57, v55, s[36:39], 0 offen              // 000000025AB0: E0501000 80093937
	v_mul_f32_e32 v112, v18, v112                              // 000000025AB8: 0AE0E112
	v_mul_f32_e32 v113, v18, v113                              // 000000025ABC: 0AE2E312
	v_mul_f32_e32 v114, v18, v114                              // 000000025AC0: 0AE4E512
	v_mul_f32_e32 v115, v18, v115                              // 000000025AC4: 0AE6E712
	v_mul_f32_e32 v116, v18, v116                              // 000000025AC8: 0AE8E912
	v_mul_f32_e32 v117, v18, v117                              // 000000025ACC: 0AEAEB12
	v_mul_f32_e32 v118, v18, v118                              // 000000025AD0: 0AECED12
	v_mul_f32_e32 v119, v18, v119                              // 000000025AD4: 0AEEEF12
	v_mul_f32_e32 v120, v18, v120                              // 000000025AD8: 0AF0F112
	v_mul_f32_e32 v121, v18, v121                              // 000000025ADC: 0AF2F312
	v_mul_f32_e32 v122, v18, v122                              // 000000025AE0: 0AF4F512
	v_mul_f32_e32 v123, v18, v123                              // 000000025AE4: 0AF6F712
	v_mul_f32_e32 v124, v18, v124                              // 000000025AE8: 0AF8F912
	v_mul_f32_e32 v125, v18, v125                              // 000000025AEC: 0AFAFB12
	v_mul_f32_e32 v126, v18, v126                              // 000000025AF0: 0AFCFD12
	v_mul_f32_e32 v127, v18, v127                              // 000000025AF4: 0AFEFF12
	buffer_load_dwordx4 a[16:19], v24, s[16:19], 0 offen       // 000000025AF8: E05C1000 80841018
	v_mul_f32_dpp v112, v248, v112 quad_perm:[0,0,0,0] row_mask:0xf bank_mask:0xf// 000000025B00: 0AE0E0FA FF0000F8
	v_mul_f32_dpp v113, v248, v113 quad_perm:[1,1,1,1] row_mask:0xf bank_mask:0xf// 000000025B08: 0AE2E2FA FF0055F8
	v_mul_f32_dpp v114, v248, v114 quad_perm:[2,2,2,2] row_mask:0xf bank_mask:0xf// 000000025B10: 0AE4E4FA FF00AAF8
	v_mul_f32_dpp v115, v248, v115 quad_perm:[3,3,3,3] row_mask:0xf bank_mask:0xf// 000000025B18: 0AE6E6FA FF00FFF8
	v_mul_f32_dpp v116, v249, v116 quad_perm:[0,0,0,0] row_mask:0xf bank_mask:0xf// 000000025B20: 0AE8E8FA FF0000F9
	v_mul_f32_dpp v117, v249, v117 quad_perm:[1,1,1,1] row_mask:0xf bank_mask:0xf// 000000025B28: 0AEAEAFA FF0055F9
	v_mul_f32_dpp v118, v249, v118 quad_perm:[2,2,2,2] row_mask:0xf bank_mask:0xf// 000000025B30: 0AECECFA FF00AAF9
	v_mul_f32_dpp v119, v249, v119 quad_perm:[3,3,3,3] row_mask:0xf bank_mask:0xf// 000000025B38: 0AEEEEFA FF00FFF9
	v_mul_f32_dpp v120, v250, v120 quad_perm:[0,0,0,0] row_mask:0xf bank_mask:0xf// 000000025B40: 0AF0F0FA FF0000FA
	v_mul_f32_dpp v121, v250, v121 quad_perm:[1,1,1,1] row_mask:0xf bank_mask:0xf// 000000025B48: 0AF2F2FA FF0055FA
	v_mul_f32_dpp v122, v250, v122 quad_perm:[2,2,2,2] row_mask:0xf bank_mask:0xf// 000000025B50: 0AF4F4FA FF00AAFA
	v_mul_f32_dpp v123, v250, v123 quad_perm:[3,3,3,3] row_mask:0xf bank_mask:0xf// 000000025B58: 0AF6F6FA FF00FFFA
	v_mul_f32_dpp v124, v251, v124 quad_perm:[0,0,0,0] row_mask:0xf bank_mask:0xf// 000000025B60: 0AF8F8FA FF0000FB
	v_mul_f32_dpp v125, v251, v125 quad_perm:[1,1,1,1] row_mask:0xf bank_mask:0xf// 000000025B68: 0AFAFAFA FF0055FB
	v_mul_f32_dpp v126, v251, v126 quad_perm:[2,2,2,2] row_mask:0xf bank_mask:0xf// 000000025B70: 0AFCFCFA FF00AAFB
	v_mul_f32_dpp v127, v251, v127 quad_perm:[3,3,3,3] row_mask:0xf bank_mask:0xf// 000000025B78: 0AFEFEFA FF00FFFB
	buffer_load_dwordx4 a[20:23], v24, s[16:19], 0 offen offset:1024// 000000025B80: E05C1400 80841418
	s_cmp_le_i32 s90, s89                                      // 000000025B88: BF05595A
	s_cbranch_scc1 label_8ED5                                  // 000000025B8C: BF850071
	v_mov_b32_e32 v66, 0xff800000                              // 000000025B90: 7E8402FF FF800000
	s_mov_b32 s60, s90                                         // 000000025B98: BEBC005A
	s_add_u32 s61, s89, 0xff                                   // 000000025B9C: 803DFF59 000000FF
	v_mov_b32_e32 v64, s61                                     // 000000025BA4: 7E80023D
	v_lshrrev_b32_e32 v240, 4, v0                              // 000000025BA8: 21E00084
	v_mul_i32_i24_e32 v240, 4, v240                            // 000000025BAC: 0DE1E084
	v_add_u32_e32 v240, s60, v240                              // 000000025BB0: 69E1E03C
	s_mov_b32 s61, 0                                           // 000000025BB4: BEBD0080
	s_mul_i32 s60, 16, s7                                      // 000000025BB8: 923C0790
	v_sub_u32_e64 v240, v240, s61                              // 000000025BBC: D13500F0 00007BF0
	v_add_u32_e32 v240, s60, v240                              // 000000025BC4: 69E1E03C
	v_add_u32_e32 v241, 1, v240                                // 000000025BC8: 69E3E081
	v_add_u32_e32 v242, 2, v240                                // 000000025BCC: 69E5E082
	v_add_u32_e32 v243, 3, v240                                // 000000025BD0: 69E7E083
	v_cmp_le_u32_e64 s[40:41], v240, v64                       // 000000025BD4: D0CB0028 000281F0
	v_add_u32_e32 v240, 64, v240                               // 000000025BDC: 69E1E0C0
	s_nop 0                                                    // 000000025BE0: BF800000
	v_cndmask_b32_e64 v112, v66, v112, s[40:41]                // 000000025BE4: D1000070 00A2E142
	v_cmp_le_u32_e64 s[40:41], v241, v64                       // 000000025BEC: D0CB0028 000281F1
	v_add_u32_e32 v241, 64, v241                               // 000000025BF4: 69E3E2C0
	s_nop 0                                                    // 000000025BF8: BF800000
	v_cndmask_b32_e64 v113, v66, v113, s[40:41]                // 000000025BFC: D1000071 00A2E342
	v_cmp_le_u32_e64 s[40:41], v242, v64                       // 000000025C04: D0CB0028 000281F2
	v_add_u32_e32 v242, 64, v242                               // 000000025C0C: 69E5E4C0
	s_nop 0                                                    // 000000025C10: BF800000
	v_cndmask_b32_e64 v114, v66, v114, s[40:41]                // 000000025C14: D1000072 00A2E542
	v_cmp_le_u32_e64 s[40:41], v243, v64                       // 000000025C1C: D0CB0028 000281F3
	v_add_u32_e32 v243, 64, v243                               // 000000025C24: 69E7E6C0
	s_nop 0                                                    // 000000025C28: BF800000
	v_cndmask_b32_e64 v115, v66, v115, s[40:41]                // 000000025C2C: D1000073 00A2E742
	v_cmp_le_u32_e64 s[40:41], v240, v64                       // 000000025C34: D0CB0028 000281F0
	v_add_u32_e32 v240, 64, v240                               // 000000025C3C: 69E1E0C0
	s_nop 0                                                    // 000000025C40: BF800000
	v_cndmask_b32_e64 v116, v66, v116, s[40:41]                // 000000025C44: D1000074 00A2E942
	v_cmp_le_u32_e64 s[40:41], v241, v64                       // 000000025C4C: D0CB0028 000281F1
	v_add_u32_e32 v241, 64, v241                               // 000000025C54: 69E3E2C0
	s_nop 0                                                    // 000000025C58: BF800000
	v_cndmask_b32_e64 v117, v66, v117, s[40:41]                // 000000025C5C: D1000075 00A2EB42
	v_cmp_le_u32_e64 s[40:41], v242, v64                       // 000000025C64: D0CB0028 000281F2
	v_add_u32_e32 v242, 64, v242                               // 000000025C6C: 69E5E4C0
	s_nop 0                                                    // 000000025C70: BF800000
	v_cndmask_b32_e64 v118, v66, v118, s[40:41]                // 000000025C74: D1000076 00A2ED42
	v_cmp_le_u32_e64 s[40:41], v243, v64                       // 000000025C7C: D0CB0028 000281F3
	v_add_u32_e32 v243, 64, v243                               // 000000025C84: 69E7E6C0
	s_nop 0                                                    // 000000025C88: BF800000
	v_cndmask_b32_e64 v119, v66, v119, s[40:41]                // 000000025C8C: D1000077 00A2EF42
	v_cmp_le_u32_e64 s[40:41], v240, v64                       // 000000025C94: D0CB0028 000281F0
	v_add_u32_e32 v240, 64, v240                               // 000000025C9C: 69E1E0C0
	s_nop 0                                                    // 000000025CA0: BF800000
	v_cndmask_b32_e64 v120, v66, v120, s[40:41]                // 000000025CA4: D1000078 00A2F142
	v_cmp_le_u32_e64 s[40:41], v241, v64                       // 000000025CAC: D0CB0028 000281F1
	v_add_u32_e32 v241, 64, v241                               // 000000025CB4: 69E3E2C0
	s_nop 0                                                    // 000000025CB8: BF800000
	v_cndmask_b32_e64 v121, v66, v121, s[40:41]                // 000000025CBC: D1000079 00A2F342
	v_cmp_le_u32_e64 s[40:41], v242, v64                       // 000000025CC4: D0CB0028 000281F2
	v_add_u32_e32 v242, 64, v242                               // 000000025CCC: 69E5E4C0
	s_nop 0                                                    // 000000025CD0: BF800000
	v_cndmask_b32_e64 v122, v66, v122, s[40:41]                // 000000025CD4: D100007A 00A2F542
	v_cmp_le_u32_e64 s[40:41], v243, v64                       // 000000025CDC: D0CB0028 000281F3
	v_add_u32_e32 v243, 64, v243                               // 000000025CE4: 69E7E6C0
	s_nop 0                                                    // 000000025CE8: BF800000
	v_cndmask_b32_e64 v123, v66, v123, s[40:41]                // 000000025CEC: D100007B 00A2F742
	v_cmp_le_u32_e64 s[40:41], v240, v64                       // 000000025CF4: D0CB0028 000281F0
	v_add_u32_e32 v240, 64, v240                               // 000000025CFC: 69E1E0C0
	s_nop 0                                                    // 000000025D00: BF800000
	v_cndmask_b32_e64 v124, v66, v124, s[40:41]                // 000000025D04: D100007C 00A2F942
	v_cmp_le_u32_e64 s[40:41], v241, v64                       // 000000025D0C: D0CB0028 000281F1
	v_add_u32_e32 v241, 64, v241                               // 000000025D14: 69E3E2C0
	s_nop 0                                                    // 000000025D18: BF800000
	v_cndmask_b32_e64 v125, v66, v125, s[40:41]                // 000000025D1C: D100007D 00A2FB42
	v_cmp_le_u32_e64 s[40:41], v242, v64                       // 000000025D24: D0CB0028 000281F2
	v_add_u32_e32 v242, 64, v242                               // 000000025D2C: 69E5E4C0
	s_nop 0                                                    // 000000025D30: BF800000
	v_cndmask_b32_e64 v126, v66, v126, s[40:41]                // 000000025D34: D100007E 00A2FD42
	v_cmp_le_u32_e64 s[40:41], v243, v64                       // 000000025D3C: D0CB0028 000281F3
	v_add_u32_e32 v243, 64, v243                               // 000000025D44: 69E7E6C0
	s_nop 0                                                    // 000000025D48: BF800000
	v_cndmask_b32_e64 v127, v66, v127, s[40:41]                // 000000025D4C: D100007F 00A2FF42

0000000000025d54 <label_8ED5>:
	v_mov_b32_e32 v48, v112                                    // 000000025D54: 7E600370
	v_max3_f32 v48, v112, v113, v48                            // 000000025D58: D1D30030 04C2E370
	v_max3_f32 v48, v114, v115, v48                            // 000000025D60: D1D30030 04C2E772
	v_max3_f32 v48, v116, v117, v48                            // 000000025D68: D1D30030 04C2EB74
	v_max3_f32 v48, v118, v119, v48                            // 000000025D70: D1D30030 04C2EF76
	v_max3_f32 v48, v120, v121, v48                            // 000000025D78: D1D30030 04C2F378
	v_max3_f32 v48, v122, v123, v48                            // 000000025D80: D1D30030 04C2F77A
	v_max3_f32 v48, v124, v125, v48                            // 000000025D88: D1D30030 04C2FB7C
	v_max3_f32 v48, v126, v127, v48                            // 000000025D90: D1D30030 04C2FF7E
	ds_write_b32 v8, v48 offset:16896                          // 000000025D98: D81A4200 00003008
	buffer_load_dwordx4 a[24:27], v25, s[16:19], 0 offen       // 000000025DA0: E05C1000 80841819
	v_mul_u32_u24_dpp v64, v16, v54 row_newbcast:1 row_mask:0xf bank_mask:0xf// 000000025DA8: 10806CFA FF015110
	v_mul_u32_u24_dpp v65, v16, v54 row_newbcast:5 row_mask:0xf bank_mask:0xf// 000000025DB0: 10826CFA FF015510
	v_mul_u32_u24_dpp v66, v16, v54 row_newbcast:9 row_mask:0xf bank_mask:0xf// 000000025DB8: 10846CFA FF015910
	v_mul_u32_u24_dpp v67, v16, v54 row_newbcast:13 row_mask:0xf bank_mask:0xf// 000000025DC0: 10866CFA FF015D10
	v_add_u32_e32 v30, v64, v6                                 // 000000025DC8: 683C0D40
	v_add_u32_e32 v31, v65, v6                                 // 000000025DCC: 683E0D41
	v_add_u32_e32 v32, v66, v6                                 // 000000025DD0: 68400D42
	v_add_u32_e32 v33, v67, v6                                 // 000000025DD4: 68420D43
	v_mul_f32_e32 v208, v49, v208                              // 000000025DD8: 0BA1A131
	v_mul_f32_e32 v209, v49, v209                              // 000000025DDC: 0BA3A331
	v_mul_f32_e32 v210, v49, v210                              // 000000025DE0: 0BA5A531
	v_mul_f32_e32 v211, v49, v211                              // 000000025DE4: 0BA7A731
	v_mul_f32_e32 v212, v49, v212                              // 000000025DE8: 0BA9A931
	v_mul_f32_e32 v213, v49, v213                              // 000000025DEC: 0BABAB31
	v_mul_f32_e32 v214, v49, v214                              // 000000025DF0: 0BADAD31
	v_mul_f32_e32 v215, v49, v215                              // 000000025DF4: 0BAFAF31
	s_waitcnt lgkmcnt(0)                                       // 000000025DF8: BF8CC07F
	s_barrier                                                  // 000000025DFC: BF8A0000
	ds_read_b32 v64, v7 offset:16896                           // 000000025E00: D86C4200 40000007
	ds_read_b32 v65, v7 offset:16960                           // 000000025E08: D86C4240 41000007
	ds_read_b32 v66, v7 offset:17024                           // 000000025E10: D86C4280 42000007
	ds_read_b32 v67, v7 offset:17088                           // 000000025E18: D86C42C0 43000007
	ds_read_b32 v68, v7 offset:17152                           // 000000025E20: D86C4300 44000007
	ds_read_b32 v69, v7 offset:17216                           // 000000025E28: D86C4340 45000007
	ds_read_b32 v70, v7 offset:17280                           // 000000025E30: D86C4380 46000007
	ds_read_b32 v71, v7 offset:17344                           // 000000025E38: D86C43C0 47000007
	ds_read_b32 v72, v7 offset:17408                           // 000000025E40: D86C4400 48000007
	ds_read_b32 v73, v7 offset:17472                           // 000000025E48: D86C4440 49000007
	ds_read_b32 v74, v7 offset:17536                           // 000000025E50: D86C4480 4A000007
	ds_read_b32 v75, v7 offset:17600                           // 000000025E58: D86C44C0 4B000007
	ds_read_b32 v76, v7 offset:17664                           // 000000025E60: D86C4500 4C000007
	ds_read_b32 v77, v7 offset:17728                           // 000000025E68: D86C4540 4D000007
	ds_read_b32 v78, v7 offset:17792                           // 000000025E70: D86C4580 4E000007
	ds_read_b32 v79, v7 offset:17856                           // 000000025E78: D86C45C0 4F000007
	buffer_load_dwordx4 a[28:31], v25, s[16:19], 0 offen offset:1024// 000000025E80: E05C1400 80841C19
	v_mul_f32_e32 v176, v44, v176                              // 000000025E88: 0B61612C
	v_mul_f32_e32 v177, v44, v177                              // 000000025E8C: 0B63632C
	v_mul_f32_e32 v178, v44, v178                              // 000000025E90: 0B65652C
	v_mul_f32_e32 v179, v44, v179                              // 000000025E94: 0B67672C
	v_mul_f32_e32 v180, v44, v180                              // 000000025E98: 0B69692C
	v_mul_f32_e32 v181, v44, v181                              // 000000025E9C: 0B6B6B2C
	v_mul_f32_e32 v182, v44, v182                              // 000000025EA0: 0B6D6D2C
	v_mul_f32_e32 v183, v44, v183                              // 000000025EA4: 0B6F6F2C
	s_waitcnt lgkmcnt(0)                                       // 000000025EA8: BF8CC07F
	v_max3_f32 v48, v64, v65, v48                              // 000000025EAC: D1D30030 04C28340
	v_max3_f32 v48, v66, v67, v48                              // 000000025EB4: D1D30030 04C28742
	v_max3_f32 v48, v68, v69, v48                              // 000000025EBC: D1D30030 04C28B44
	v_max3_f32 v48, v70, v71, v48                              // 000000025EC4: D1D30030 04C28F46
	v_max3_f32 v48, v72, v73, v48                              // 000000025ECC: D1D30030 04C29348
	v_max3_f32 v48, v74, v75, v48                              // 000000025ED4: D1D30030 04C2974A
	v_max3_f32 v48, v76, v77, v48                              // 000000025EDC: D1D30030 04C29B4C
	v_max3_f32 v48, v78, v79, v48                              // 000000025EE4: D1D30030 04C29F4E
	buffer_load_dwordx4 a[64:67], v30, s[20:23], 0 offen       // 000000025EEC: E05C1000 8085401E
	v_mov_b32_e32 v64, 0xff800000                              // 000000025EF4: 7E8002FF FF800000
	v_cmp_eq_u32_e64 s[40:41], v64, v11                        // 000000025EFC: D0CA0028 00021740
	s_nop 1                                                    // 000000025F04: BF800001
	v_max_f32_e32 v15, v48, v11                                // 000000025F08: 161E1730
	v_mul_f32_e32 v53, s64, v15                                // 000000025F0C: 0A6A1E40
	v_fma_f32 v112, v112, s64, -v53                            // 000000025F10: D1CB0070 84D48170
	v_fma_f32 v113, v113, s64, -v53                            // 000000025F18: D1CB0071 84D48171
	v_fma_f32 v114, v114, s64, -v53                            // 000000025F20: D1CB0072 84D48172
	v_fma_f32 v115, v115, s64, -v53                            // 000000025F28: D1CB0073 84D48173
	v_fma_f32 v116, v116, s64, -v53                            // 000000025F30: D1CB0074 84D48174
	v_fma_f32 v117, v117, s64, -v53                            // 000000025F38: D1CB0075 84D48175
	v_fma_f32 v118, v118, s64, -v53                            // 000000025F40: D1CB0076 84D48176
	v_fma_f32 v119, v119, s64, -v53                            // 000000025F48: D1CB0077 84D48177
	v_fma_f32 v120, v120, s64, -v53                            // 000000025F50: D1CB0078 84D48178
	v_fma_f32 v121, v121, s64, -v53                            // 000000025F58: D1CB0079 84D48179
	v_fma_f32 v122, v122, s64, -v53                            // 000000025F60: D1CB007A 84D4817A
	v_fma_f32 v123, v123, s64, -v53                            // 000000025F68: D1CB007B 84D4817B
	v_fma_f32 v124, v124, s64, -v53                            // 000000025F70: D1CB007C 84D4817C
	v_fma_f32 v125, v125, s64, -v53                            // 000000025F78: D1CB007D 84D4817D
	v_fma_f32 v126, v126, s64, -v53                            // 000000025F80: D1CB007E 84D4817E
	v_fma_f32 v127, v127, s64, -v53                            // 000000025F88: D1CB007F 84D4817F
	buffer_load_dwordx4 a[68:71], v31, s[20:23], 0 offen       // 000000025F90: E05C1000 8085441F
	v_exp_f32_e32 v112, v112                                   // 000000025F98: 7EE04170
	v_exp_f32_e32 v113, v113                                   // 000000025F9C: 7EE24171
	v_exp_f32_e32 v114, v114                                   // 000000025FA0: 7EE44172
	v_exp_f32_e32 v115, v115                                   // 000000025FA4: 7EE64173
	v_exp_f32_e32 v116, v116                                   // 000000025FA8: 7EE84174
	v_exp_f32_e32 v117, v117                                   // 000000025FAC: 7EEA4175
	v_exp_f32_e32 v118, v118                                   // 000000025FB0: 7EEC4176
	v_exp_f32_e32 v119, v119                                   // 000000025FB4: 7EEE4177
	v_exp_f32_e32 v120, v120                                   // 000000025FB8: 7EF04178
	v_exp_f32_e32 v121, v121                                   // 000000025FBC: 7EF24179
	v_exp_f32_e32 v122, v122                                   // 000000025FC0: 7EF4417A
	v_exp_f32_e32 v123, v123                                   // 000000025FC4: 7EF6417B
	v_exp_f32_e32 v124, v124                                   // 000000025FC8: 7EF8417C
	v_exp_f32_e32 v125, v125                                   // 000000025FCC: 7EFA417D
	v_exp_f32_e32 v126, v126                                   // 000000025FD0: 7EFC417E
	v_exp_f32_e32 v127, v127                                   // 000000025FD4: 7EFE417F
	buffer_load_dwordx4 a[72:75], v32, s[20:23], 0 offen       // 000000025FD8: E05C1000 80854820
	v_mul_f32_dpp v240, v252, v112 quad_perm:[0,0,0,0] row_mask:0xf bank_mask:0xf// 000000025FE0: 0BE0E0FA FF0000FC
	v_mul_f32_dpp v241, v252, v113 quad_perm:[1,1,1,1] row_mask:0xf bank_mask:0xf// 000000025FE8: 0BE2E2FA FF0055FC
	v_mul_f32_dpp v242, v252, v114 quad_perm:[2,2,2,2] row_mask:0xf bank_mask:0xf// 000000025FF0: 0BE4E4FA FF00AAFC
	v_mul_f32_dpp v243, v252, v115 quad_perm:[3,3,3,3] row_mask:0xf bank_mask:0xf// 000000025FF8: 0BE6E6FA FF00FFFC
	v_mul_f32_dpp v244, v253, v116 quad_perm:[0,0,0,0] row_mask:0xf bank_mask:0xf// 000000026000: 0BE8E8FA FF0000FD
	v_mul_f32_dpp v245, v253, v117 quad_perm:[1,1,1,1] row_mask:0xf bank_mask:0xf// 000000026008: 0BEAEAFA FF0055FD
	v_mul_f32_dpp v246, v253, v118 quad_perm:[2,2,2,2] row_mask:0xf bank_mask:0xf// 000000026010: 0BECECFA FF00AAFD
	v_mul_f32_dpp v247, v253, v119 quad_perm:[3,3,3,3] row_mask:0xf bank_mask:0xf// 000000026018: 0BEEEEFA FF00FFFD
	v_mul_f32_dpp v248, v254, v120 quad_perm:[0,0,0,0] row_mask:0xf bank_mask:0xf// 000000026020: 0BF0F0FA FF0000FE
	v_mul_f32_dpp v249, v254, v121 quad_perm:[1,1,1,1] row_mask:0xf bank_mask:0xf// 000000026028: 0BF2F2FA FF0055FE
	v_mul_f32_dpp v250, v254, v122 quad_perm:[2,2,2,2] row_mask:0xf bank_mask:0xf// 000000026030: 0BF4F4FA FF00AAFE
	v_mul_f32_dpp v251, v254, v123 quad_perm:[3,3,3,3] row_mask:0xf bank_mask:0xf// 000000026038: 0BF6F6FA FF00FFFE
	v_mul_f32_dpp v252, v255, v124 quad_perm:[0,0,0,0] row_mask:0xf bank_mask:0xf// 000000026040: 0BF8F8FA FF0000FF
	v_mul_f32_dpp v253, v255, v125 quad_perm:[1,1,1,1] row_mask:0xf bank_mask:0xf// 000000026048: 0BFAFAFA FF0055FF
	v_mul_f32_dpp v254, v255, v126 quad_perm:[2,2,2,2] row_mask:0xf bank_mask:0xf// 000000026050: 0BFCFCFA FF00AAFF
	v_mul_f32_dpp v255, v255, v127 quad_perm:[3,3,3,3] row_mask:0xf bank_mask:0xf// 000000026058: 0BFEFEFA FF00FFFF
	v_mov_b32_e32 v48, 0x358637bd                              // 000000026060: 7E6002FF 358637BD
	v_max3_f32 v48, |v240|, |v241|, v48                        // 000000026068: D1D30330 04C3E3F0
	v_max3_f32 v48, |v242|, |v243|, v48                        // 000000026070: D1D30330 04C3E7F2
	v_max3_f32 v48, |v244|, |v245|, v48                        // 000000026078: D1D30330 04C3EBF4
	v_max3_f32 v48, |v246|, |v247|, v48                        // 000000026080: D1D30330 04C3EFF6
	v_max3_f32 v48, |v248|, |v249|, v48                        // 000000026088: D1D30330 04C3F3F8
	v_max3_f32 v48, |v250|, |v251|, v48                        // 000000026090: D1D30330 04C3F7FA
	v_max3_f32 v48, |v252|, |v253|, v48                        // 000000026098: D1D30330 04C3FBFC
	v_max3_f32 v48, |v254|, |v255|, v48                        // 0000000260A0: D1D30330 04C3FFFE
	buffer_load_dwordx4 a[76:79], v33, s[20:23], 0 offen       // 0000000260A8: E05C1000 80854C21
	ds_write_b32 v8, v48 offset:20992                          // 0000000260B0: D81A5200 00003008
	v_sub_f32_e32 v49, v11, v15                                // 0000000260B8: 04621F0B
	v_cndmask_b32_e64 v49, v49, 0, s[40:41]                    // 0000000260BC: D1000031 00A10131
	v_mov_b32_e32 v11, v15                                     // 0000000260C4: 7E16030F
	v_mul_f32_e32 v49, s64, v49                                // 0000000260C8: 0A626240
	v_exp_f32_e32 v49, v49                                     // 0000000260CC: 7E624131
	s_waitcnt lgkmcnt(0)                                       // 0000000260D0: BF8CC07F
	s_barrier                                                  // 0000000260D4: BF8A0000
	ds_read_b32 v64, v7 offset:20992                           // 0000000260D8: D86C5200 40000007
	ds_read_b32 v65, v7 offset:21056                           // 0000000260E0: D86C5240 41000007
	ds_read_b32 v66, v7 offset:21120                           // 0000000260E8: D86C5280 42000007
	ds_read_b32 v67, v7 offset:21184                           // 0000000260F0: D86C52C0 43000007
	ds_read_b32 v68, v7 offset:21248                           // 0000000260F8: D86C5300 44000007
	ds_read_b32 v69, v7 offset:21312                           // 000000026100: D86C5340 45000007
	ds_read_b32 v70, v7 offset:21376                           // 000000026108: D86C5380 46000007
	ds_read_b32 v71, v7 offset:21440                           // 000000026110: D86C53C0 47000007
	ds_read_b32 v72, v7 offset:21504                           // 000000026118: D86C5400 48000007
	ds_read_b32 v73, v7 offset:21568                           // 000000026120: D86C5440 49000007
	ds_read_b32 v74, v7 offset:21632                           // 000000026128: D86C5480 4A000007
	ds_read_b32 v75, v7 offset:21696                           // 000000026130: D86C54C0 4B000007
	ds_read_b32 v76, v7 offset:21760                           // 000000026138: D86C5500 4C000007
	ds_read_b32 v77, v7 offset:21824                           // 000000026140: D86C5540 4D000007
	ds_read_b32 v78, v7 offset:21888                           // 000000026148: D86C5580 4E000007
	ds_read_b32 v79, v7 offset:21952                           // 000000026150: D86C55C0 4F000007
	v_mul_f32_e32 v38, v49, v38                                // 000000026158: 0A4C4D31
	v_mov_b32_e32 v15, v112                                    // 00000002615C: 7E1E0370
	v_add_f32_e32 v15, v113, v15                               // 000000026160: 021E1F71
	v_add_f32_e32 v15, v114, v15                               // 000000026164: 021E1F72
	v_add_f32_e32 v15, v115, v15                               // 000000026168: 021E1F73
	v_add_f32_e32 v15, v116, v15                               // 00000002616C: 021E1F74
	v_add_f32_e32 v15, v117, v15                               // 000000026170: 021E1F75
	v_add_f32_e32 v15, v118, v15                               // 000000026174: 021E1F76
	v_add_f32_e32 v15, v119, v15                               // 000000026178: 021E1F77
	v_add_f32_e32 v15, v120, v15                               // 00000002617C: 021E1F78
	v_add_f32_e32 v15, v121, v15                               // 000000026180: 021E1F79
	v_add_f32_e32 v15, v122, v15                               // 000000026184: 021E1F7A
	v_add_f32_e32 v15, v123, v15                               // 000000026188: 021E1F7B
	v_add_f32_e32 v15, v124, v15                               // 00000002618C: 021E1F7C
	v_add_f32_e32 v15, v125, v15                               // 000000026190: 021E1F7D
	v_add_f32_e32 v15, v126, v15                               // 000000026194: 021E1F7E
	v_add_f32_e32 v15, v127, v15                               // 000000026198: 021E1F7F
	v_add_f32_e32 v38, v15, v38                                // 00000002619C: 024C4D0F
	s_waitcnt lgkmcnt(0)                                       // 0000000261A0: BF8CC07F
	v_max3_f32 v48, |v64|, |v65|, v48                          // 0000000261A4: D1D30330 04C28340
	v_max3_f32 v48, |v66|, |v67|, v48                          // 0000000261AC: D1D30330 04C28742
	v_max3_f32 v48, |v68|, |v69|, v48                          // 0000000261B4: D1D30330 04C28B44
	v_max3_f32 v48, |v70|, |v71|, v48                          // 0000000261BC: D1D30330 04C28F46
	v_max3_f32 v48, |v72|, |v73|, v48                          // 0000000261C4: D1D30330 04C29348
	v_max3_f32 v48, |v74|, |v75|, v48                          // 0000000261CC: D1D30330 04C2974A
	v_max3_f32 v48, |v76|, |v77|, v48                          // 0000000261D4: D1D30330 04C29B4C
	v_max3_f32 v48, |v78|, |v79|, v48                          // 0000000261DC: D1D30330 04C29F4E
	s_nop 2                                                    // 0000000261E4: BF800002
	v_rcp_f32_e32 v48, v48                                     // 0000000261E8: 7E604530
	s_nop 1                                                    // 0000000261EC: BF800001
	v_mul_f32_e32 v48, 0x43e00000, v48                         // 0000000261F0: 0A6060FF 43E00000
	v_mul_f32_e32 v112, v48, v240                              // 0000000261F8: 0AE1E130
	v_mul_f32_e32 v113, v48, v241                              // 0000000261FC: 0AE3E330
	v_mul_f32_e32 v114, v48, v242                              // 000000026200: 0AE5E530
	v_mul_f32_e32 v115, v48, v243                              // 000000026204: 0AE7E730
	v_mul_f32_e32 v116, v48, v244                              // 000000026208: 0AE9E930
	v_mul_f32_e32 v117, v48, v245                              // 00000002620C: 0AEBEB30
	v_mul_f32_e32 v118, v48, v246                              // 000000026210: 0AEDED30
	v_mul_f32_e32 v119, v48, v247                              // 000000026214: 0AEFEF30
	v_mul_f32_e32 v120, v48, v248                              // 000000026218: 0AF1F130
	v_mul_f32_e32 v121, v48, v249                              // 00000002621C: 0AF3F330
	v_mul_f32_e32 v122, v48, v250                              // 000000026220: 0AF5F530
	v_mul_f32_e32 v123, v48, v251                              // 000000026224: 0AF7F730
	v_mul_f32_e32 v124, v48, v252                              // 000000026228: 0AF9F930
	v_mul_f32_e32 v125, v48, v253                              // 00000002622C: 0AFBFB30
	v_mul_f32_e32 v126, v48, v254                              // 000000026230: 0AFDFD30
	v_mul_f32_e32 v127, v48, v255                              // 000000026234: 0AFFFF30
	v_cvt_pk_fp8_f32 v112, v112, v113                          // 000000026238: D2A20070 0002E370
	v_cvt_pk_fp8_f32 v112, v114, v115 op_sel:[0,0,1]           // 000000026240: D2A24070 0002E772
	v_cvt_pk_fp8_f32 v113, v116, v117                          // 000000026248: D2A20071 0002EB74
	v_cvt_pk_fp8_f32 v113, v118, v119 op_sel:[0,0,1]           // 000000026250: D2A24071 0002EF76
	v_cvt_pk_fp8_f32 v114, v120, v121                          // 000000026258: D2A20072 0002F378
	v_cvt_pk_fp8_f32 v114, v122, v123 op_sel:[0,0,1]           // 000000026260: D2A24072 0002F77A
	v_cvt_pk_fp8_f32 v115, v124, v125                          // 000000026268: D2A20073 0002FB7C
	v_cvt_pk_fp8_f32 v115, v126, v127 op_sel:[0,0,1]           // 000000026270: D2A24073 0002FF7E
	ds_write_b32 v10, v112 offset:25088                        // 000000026278: D81A6200 0000700A
	ds_write_b32 v10, v113 offset:26112                        // 000000026280: D81A6600 0000710A
	ds_write_b32 v10, v114 offset:27136                        // 000000026288: D81A6A00 0000720A
	ds_write_b32 v10, v115 offset:28160                        // 000000026290: D81A6E00 0000730A
	v_add_f32_e32 v208, v208, v176                             // 000000026298: 03A161D0
	v_add_f32_e32 v209, v209, v177                             // 00000002629C: 03A363D1
	v_add_f32_e32 v210, v210, v178                             // 0000000262A0: 03A565D2
	v_add_f32_e32 v211, v211, v179                             // 0000000262A4: 03A767D3
	v_add_f32_e32 v212, v212, v180                             // 0000000262A8: 03A969D4
	v_add_f32_e32 v213, v213, v181                             // 0000000262AC: 03AB6BD5
	v_add_f32_e32 v214, v214, v182                             // 0000000262B0: 03AD6DD6
	v_add_f32_e32 v215, v215, v183                             // 0000000262B4: 03AF6FD7
	v_rcp_f32_e32 v44, v48                                     // 0000000262B8: 7E584530
	s_waitcnt lgkmcnt(0)                                       // 0000000262BC: BF8CC07F
	s_barrier                                                  // 0000000262C0: BF8A0000
	ds_read_b64 v[112:113], v9 offset:25088                    // 0000000262C4: D8EC6200 70000009
	ds_read_b64 v[114:115], v9 offset:25216                    // 0000000262CC: D8EC6280 72000009
	ds_read_b64 v[116:117], v9 offset:26112                    // 0000000262D4: D8EC6600 74000009
	ds_read_b64 v[118:119], v9 offset:26240                    // 0000000262DC: D8EC6680 76000009
	ds_read_b64 v[120:121], v9 offset:27136                    // 0000000262E4: D8EC6A00 78000009
	ds_read_b64 v[122:123], v9 offset:27264                    // 0000000262EC: D8EC6A80 7A000009
	ds_read_b64 v[124:125], v9 offset:28160                    // 0000000262F4: D8EC6E00 7C000009
	ds_read_b64 v[126:127], v9 offset:28288                    // 0000000262FC: D8EC6E80 7E000009
	v_mov_b32_dpp v64, v43 row_shr:4 row_mask:0xf bank_mask:0xf// 000000026304: 7E8002FA FF01142B
	v_mov_b32_dpp v65, v43 row_shl:4 row_mask:0xf bank_mask:0xf// 00000002630C: 7E8202FA FF01042B
	v_cndmask_b32_e64 v248, v43, v64, s[44:45]                 // 000000026314: D10000F8 00B2812B
	v_cndmask_b32_e64 v249, v65, v43, s[44:45]                 // 00000002631C: D10000F9 00B25741
	v_mov_b32_dpp v64, v248 row_shr:8 row_mask:0xf bank_mask:0xf// 000000026324: 7E8002FA FF0118F8
	v_mov_b32_dpp v65, v248 row_shl:8 row_mask:0xf bank_mask:0xf// 00000002632C: 7E8202FA FF0108F8
	v_mov_b32_dpp v66, v249 row_shr:8 row_mask:0xf bank_mask:0xf// 000000026334: 7E8402FA FF0118F9
	v_mov_b32_dpp v67, v249 row_shl:8 row_mask:0xf bank_mask:0xf// 00000002633C: 7E8602FA FF0108F9
	v_mov_b32_e32 v68, v248                                    // 000000026344: 7E8803F8
	v_mov_b32_e32 v69, v249                                    // 000000026348: 7E8A03F9
	v_cndmask_b32_e64 v248, v68, v64, s[42:43]                 // 00000002634C: D10000F8 00AA8144
	v_cndmask_b32_e64 v250, v68, v65, s[78:79]                 // 000000026354: D10000FA 013A8344
	v_cndmask_b32_e64 v249, v69, v66, s[42:43]                 // 00000002635C: D10000F9 00AA8545
	v_cndmask_b32_e64 v251, v69, v67, s[78:79]                 // 000000026364: D10000FB 013A8745
	v_mov_b32_dpp v64, v58 row_shr:4 row_mask:0xf bank_mask:0xf// 00000002636C: 7E8002FA FF01143A
	v_mov_b32_dpp v65, v58 row_shl:4 row_mask:0xf bank_mask:0xf// 000000026374: 7E8202FA FF01043A
	v_cndmask_b32_e64 v252, v58, v64, s[44:45]                 // 00000002637C: D10000FC 00B2813A
	v_cndmask_b32_e64 v253, v65, v58, s[44:45]                 // 000000026384: D10000FD 00B27541
	v_mov_b32_dpp v64, v252 row_shr:8 row_mask:0xf bank_mask:0xf// 00000002638C: 7E8002FA FF0118FC
	v_mov_b32_dpp v65, v252 row_shl:8 row_mask:0xf bank_mask:0xf// 000000026394: 7E8202FA FF0108FC
	v_mov_b32_dpp v66, v253 row_shr:8 row_mask:0xf bank_mask:0xf// 00000002639C: 7E8402FA FF0118FD
	v_mov_b32_dpp v67, v253 row_shl:8 row_mask:0xf bank_mask:0xf// 0000000263A4: 7E8602FA FF0108FD
	v_mov_b32_e32 v68, v252                                    // 0000000263AC: 7E8803FC
	v_mov_b32_e32 v69, v253                                    // 0000000263B0: 7E8A03FD
	v_cndmask_b32_e64 v252, v68, v64, s[42:43]                 // 0000000263B4: D10000FC 00AA8144
	v_cndmask_b32_e64 v254, v68, v65, s[78:79]                 // 0000000263BC: D10000FE 013A8344
	v_cndmask_b32_e64 v253, v69, v66, s[42:43]                 // 0000000263C4: D10000FD 00AA8545
	v_cndmask_b32_e64 v255, v69, v67, s[78:79]                 // 0000000263CC: D10000FF 013A8745
	v_mul_f32_e32 v128, v19, v128                              // 0000000263D4: 0B010113
	v_mul_f32_e32 v129, v19, v129                              // 0000000263D8: 0B030313
	v_mul_f32_e32 v130, v19, v130                              // 0000000263DC: 0B050513
	v_mul_f32_e32 v131, v19, v131                              // 0000000263E0: 0B070713
	v_mul_f32_e32 v132, v19, v132                              // 0000000263E4: 0B090913
	v_mul_f32_e32 v133, v19, v133                              // 0000000263E8: 0B0B0B13
	v_mul_f32_e32 v134, v19, v134                              // 0000000263EC: 0B0D0D13
	v_mul_f32_e32 v135, v19, v135                              // 0000000263F0: 0B0F0F13
	v_mul_f32_e32 v136, v19, v136                              // 0000000263F4: 0B111113
	v_mul_f32_e32 v137, v19, v137                              // 0000000263F8: 0B131313
	v_mul_f32_e32 v138, v19, v138                              // 0000000263FC: 0B151513
	v_mul_f32_e32 v139, v19, v139                              // 000000026400: 0B171713
	v_mul_f32_e32 v140, v19, v140                              // 000000026404: 0B191913
	v_mul_f32_e32 v141, v19, v141                              // 000000026408: 0B1B1B13
	v_mul_f32_e32 v142, v19, v142                              // 00000002640C: 0B1D1D13
	v_mul_f32_e32 v143, v19, v143                              // 000000026410: 0B1F1F13
	v_mul_f32_dpp v128, v248, v128 quad_perm:[0,0,0,0] row_mask:0xf bank_mask:0xf// 000000026414: 0B0100FA FF0000F8
	v_mul_f32_dpp v129, v248, v129 quad_perm:[1,1,1,1] row_mask:0xf bank_mask:0xf// 00000002641C: 0B0302FA FF0055F8
	v_mul_f32_dpp v130, v248, v130 quad_perm:[2,2,2,2] row_mask:0xf bank_mask:0xf// 000000026424: 0B0504FA FF00AAF8
	v_mul_f32_dpp v131, v248, v131 quad_perm:[3,3,3,3] row_mask:0xf bank_mask:0xf// 00000002642C: 0B0706FA FF00FFF8
	v_mul_f32_dpp v132, v249, v132 quad_perm:[0,0,0,0] row_mask:0xf bank_mask:0xf// 000000026434: 0B0908FA FF0000F9
	v_mul_f32_dpp v133, v249, v133 quad_perm:[1,1,1,1] row_mask:0xf bank_mask:0xf// 00000002643C: 0B0B0AFA FF0055F9
	v_mul_f32_dpp v134, v249, v134 quad_perm:[2,2,2,2] row_mask:0xf bank_mask:0xf// 000000026444: 0B0D0CFA FF00AAF9
	v_mul_f32_dpp v135, v249, v135 quad_perm:[3,3,3,3] row_mask:0xf bank_mask:0xf// 00000002644C: 0B0F0EFA FF00FFF9
	v_mul_f32_dpp v136, v250, v136 quad_perm:[0,0,0,0] row_mask:0xf bank_mask:0xf// 000000026454: 0B1110FA FF0000FA
	v_mul_f32_dpp v137, v250, v137 quad_perm:[1,1,1,1] row_mask:0xf bank_mask:0xf// 00000002645C: 0B1312FA FF0055FA
	v_mul_f32_dpp v138, v250, v138 quad_perm:[2,2,2,2] row_mask:0xf bank_mask:0xf// 000000026464: 0B1514FA FF00AAFA
	v_mul_f32_dpp v139, v250, v139 quad_perm:[3,3,3,3] row_mask:0xf bank_mask:0xf// 00000002646C: 0B1716FA FF00FFFA
	v_mul_f32_dpp v140, v251, v140 quad_perm:[0,0,0,0] row_mask:0xf bank_mask:0xf// 000000026474: 0B1918FA FF0000FB
	v_mul_f32_dpp v141, v251, v141 quad_perm:[1,1,1,1] row_mask:0xf bank_mask:0xf// 00000002647C: 0B1B1AFA FF0055FB
	v_mul_f32_dpp v142, v251, v142 quad_perm:[2,2,2,2] row_mask:0xf bank_mask:0xf// 000000026484: 0B1D1CFA FF00AAFB
	v_mul_f32_dpp v143, v251, v143 quad_perm:[3,3,3,3] row_mask:0xf bank_mask:0xf// 00000002648C: 0B1F1EFA FF00FFFB
	s_cmp_le_i32 s90, s89                                      // 000000026494: BF05595A
	s_cbranch_scc1 label_9118                                  // 000000026498: BF850071
	v_mov_b32_e32 v66, 0xff800000                              // 00000002649C: 7E8402FF FF800000
	s_mov_b32 s60, s90                                         // 0000000264A4: BEBC005A
	s_add_u32 s61, s89, 0xff                                   // 0000000264A8: 803DFF59 000000FF
	v_mov_b32_e32 v64, s61                                     // 0000000264B0: 7E80023D
	v_lshrrev_b32_e32 v240, 4, v0                              // 0000000264B4: 21E00084
	v_mul_i32_i24_e32 v240, 4, v240                            // 0000000264B8: 0DE1E084
	v_add_u32_e32 v240, s60, v240                              // 0000000264BC: 69E1E03C
	s_mov_b32 s61, 1                                           // 0000000264C0: BEBD0081
	s_mul_i32 s60, 16, s7                                      // 0000000264C4: 923C0790
	v_sub_u32_e64 v240, v240, s61                              // 0000000264C8: D13500F0 00007BF0
	v_add_u32_e32 v240, s60, v240                              // 0000000264D0: 69E1E03C
	v_add_u32_e32 v241, 1, v240                                // 0000000264D4: 69E3E081
	v_add_u32_e32 v242, 2, v240                                // 0000000264D8: 69E5E082
	v_add_u32_e32 v243, 3, v240                                // 0000000264DC: 69E7E083
	v_cmp_le_u32_e64 s[40:41], v240, v64                       // 0000000264E0: D0CB0028 000281F0
	v_add_u32_e32 v240, 64, v240                               // 0000000264E8: 69E1E0C0
	s_nop 0                                                    // 0000000264EC: BF800000
	v_cndmask_b32_e64 v128, v66, v128, s[40:41]                // 0000000264F0: D1000080 00A30142
	v_cmp_le_u32_e64 s[40:41], v241, v64                       // 0000000264F8: D0CB0028 000281F1
	v_add_u32_e32 v241, 64, v241                               // 000000026500: 69E3E2C0
	s_nop 0                                                    // 000000026504: BF800000
	v_cndmask_b32_e64 v129, v66, v129, s[40:41]                // 000000026508: D1000081 00A30342
	v_cmp_le_u32_e64 s[40:41], v242, v64                       // 000000026510: D0CB0028 000281F2
	v_add_u32_e32 v242, 64, v242                               // 000000026518: 69E5E4C0
	s_nop 0                                                    // 00000002651C: BF800000
	v_cndmask_b32_e64 v130, v66, v130, s[40:41]                // 000000026520: D1000082 00A30542
	v_cmp_le_u32_e64 s[40:41], v243, v64                       // 000000026528: D0CB0028 000281F3
	v_add_u32_e32 v243, 64, v243                               // 000000026530: 69E7E6C0
	s_nop 0                                                    // 000000026534: BF800000
	v_cndmask_b32_e64 v131, v66, v131, s[40:41]                // 000000026538: D1000083 00A30742
	v_cmp_le_u32_e64 s[40:41], v240, v64                       // 000000026540: D0CB0028 000281F0
	v_add_u32_e32 v240, 64, v240                               // 000000026548: 69E1E0C0
	s_nop 0                                                    // 00000002654C: BF800000
	v_cndmask_b32_e64 v132, v66, v132, s[40:41]                // 000000026550: D1000084 00A30942
	v_cmp_le_u32_e64 s[40:41], v241, v64                       // 000000026558: D0CB0028 000281F1
	v_add_u32_e32 v241, 64, v241                               // 000000026560: 69E3E2C0
	s_nop 0                                                    // 000000026564: BF800000
	v_cndmask_b32_e64 v133, v66, v133, s[40:41]                // 000000026568: D1000085 00A30B42
	v_cmp_le_u32_e64 s[40:41], v242, v64                       // 000000026570: D0CB0028 000281F2
	v_add_u32_e32 v242, 64, v242                               // 000000026578: 69E5E4C0
	s_nop 0                                                    // 00000002657C: BF800000
	v_cndmask_b32_e64 v134, v66, v134, s[40:41]                // 000000026580: D1000086 00A30D42
	v_cmp_le_u32_e64 s[40:41], v243, v64                       // 000000026588: D0CB0028 000281F3
	v_add_u32_e32 v243, 64, v243                               // 000000026590: 69E7E6C0
	s_nop 0                                                    // 000000026594: BF800000
	v_cndmask_b32_e64 v135, v66, v135, s[40:41]                // 000000026598: D1000087 00A30F42
	v_cmp_le_u32_e64 s[40:41], v240, v64                       // 0000000265A0: D0CB0028 000281F0
	v_add_u32_e32 v240, 64, v240                               // 0000000265A8: 69E1E0C0
	s_nop 0                                                    // 0000000265AC: BF800000
	v_cndmask_b32_e64 v136, v66, v136, s[40:41]                // 0000000265B0: D1000088 00A31142
	v_cmp_le_u32_e64 s[40:41], v241, v64                       // 0000000265B8: D0CB0028 000281F1
	v_add_u32_e32 v241, 64, v241                               // 0000000265C0: 69E3E2C0
	s_nop 0                                                    // 0000000265C4: BF800000
	v_cndmask_b32_e64 v137, v66, v137, s[40:41]                // 0000000265C8: D1000089 00A31342
	v_cmp_le_u32_e64 s[40:41], v242, v64                       // 0000000265D0: D0CB0028 000281F2
	v_add_u32_e32 v242, 64, v242                               // 0000000265D8: 69E5E4C0
	s_nop 0                                                    // 0000000265DC: BF800000
	v_cndmask_b32_e64 v138, v66, v138, s[40:41]                // 0000000265E0: D100008A 00A31542
	v_cmp_le_u32_e64 s[40:41], v243, v64                       // 0000000265E8: D0CB0028 000281F3
	v_add_u32_e32 v243, 64, v243                               // 0000000265F0: 69E7E6C0
	s_nop 0                                                    // 0000000265F4: BF800000
	v_cndmask_b32_e64 v139, v66, v139, s[40:41]                // 0000000265F8: D100008B 00A31742
	v_cmp_le_u32_e64 s[40:41], v240, v64                       // 000000026600: D0CB0028 000281F0
	v_add_u32_e32 v240, 64, v240                               // 000000026608: 69E1E0C0
	s_nop 0                                                    // 00000002660C: BF800000
	v_cndmask_b32_e64 v140, v66, v140, s[40:41]                // 000000026610: D100008C 00A31942
	v_cmp_le_u32_e64 s[40:41], v241, v64                       // 000000026618: D0CB0028 000281F1
	v_add_u32_e32 v241, 64, v241                               // 000000026620: 69E3E2C0
	s_nop 0                                                    // 000000026624: BF800000
	v_cndmask_b32_e64 v141, v66, v141, s[40:41]                // 000000026628: D100008D 00A31B42
	v_cmp_le_u32_e64 s[40:41], v242, v64                       // 000000026630: D0CB0028 000281F2
	v_add_u32_e32 v242, 64, v242                               // 000000026638: 69E5E4C0
	s_nop 0                                                    // 00000002663C: BF800000
	v_cndmask_b32_e64 v142, v66, v142, s[40:41]                // 000000026640: D100008E 00A31D42
	v_cmp_le_u32_e64 s[40:41], v243, v64                       // 000000026648: D0CB0028 000281F3
	v_add_u32_e32 v243, 64, v243                               // 000000026650: 69E7E6C0
	s_nop 0                                                    // 000000026654: BF800000
	v_cndmask_b32_e64 v143, v66, v143, s[40:41]                // 000000026658: D100008F 00A31F42

0000000000026660 <label_9118>:
	v_mov_b32_e32 v48, v128                                    // 000000026660: 7E600380
	v_max3_f32 v48, v128, v129, v48                            // 000000026664: D1D30030 04C30380
	v_max3_f32 v48, v130, v131, v48                            // 00000002666C: D1D30030 04C30782
	v_max3_f32 v48, v132, v133, v48                            // 000000026674: D1D30030 04C30B84
	v_max3_f32 v48, v134, v135, v48                            // 00000002667C: D1D30030 04C30F86
	v_max3_f32 v48, v136, v137, v48                            // 000000026684: D1D30030 04C31388
	v_max3_f32 v48, v138, v139, v48                            // 00000002668C: D1D30030 04C3178A
	v_max3_f32 v48, v140, v141, v48                            // 000000026694: D1D30030 04C31B8C
	v_max3_f32 v48, v142, v143, v48                            // 00000002669C: D1D30030 04C31F8E
	ds_write_b32 v8, v48 offset:16896                          // 0000000266A4: D81A4200 00003008
	v_mul_f32_e32 v216, v50, v216                              // 0000000266AC: 0BB1B132
	v_mul_f32_e32 v217, v50, v217                              // 0000000266B0: 0BB3B332
	v_mul_f32_e32 v218, v50, v218                              // 0000000266B4: 0BB5B532
	v_mul_f32_e32 v219, v50, v219                              // 0000000266B8: 0BB7B732
	v_mul_f32_e32 v220, v50, v220                              // 0000000266BC: 0BB9B932
	v_mul_f32_e32 v221, v50, v221                              // 0000000266C0: 0BBBBB32
	v_mul_f32_e32 v222, v50, v222                              // 0000000266C4: 0BBDBD32
	v_mul_f32_e32 v223, v50, v223                              // 0000000266C8: 0BBFBF32
	s_waitcnt lgkmcnt(0)                                       // 0000000266CC: BF8CC07F
	s_barrier                                                  // 0000000266D0: BF8A0000
	ds_read_b32 v64, v7 offset:16896                           // 0000000266D4: D86C4200 40000007
	ds_read_b32 v65, v7 offset:16960                           // 0000000266DC: D86C4240 41000007
	ds_read_b32 v66, v7 offset:17024                           // 0000000266E4: D86C4280 42000007
	ds_read_b32 v67, v7 offset:17088                           // 0000000266EC: D86C42C0 43000007
	ds_read_b32 v68, v7 offset:17152                           // 0000000266F4: D86C4300 44000007
	ds_read_b32 v69, v7 offset:17216                           // 0000000266FC: D86C4340 45000007
	ds_read_b32 v70, v7 offset:17280                           // 000000026704: D86C4380 46000007
	ds_read_b32 v71, v7 offset:17344                           // 00000002670C: D86C43C0 47000007
	ds_read_b32 v72, v7 offset:17408                           // 000000026714: D86C4400 48000007
	ds_read_b32 v73, v7 offset:17472                           // 00000002671C: D86C4440 49000007
	ds_read_b32 v74, v7 offset:17536                           // 000000026724: D86C4480 4A000007
	ds_read_b32 v75, v7 offset:17600                           // 00000002672C: D86C44C0 4B000007
	ds_read_b32 v76, v7 offset:17664                           // 000000026734: D86C4500 4C000007
	ds_read_b32 v77, v7 offset:17728                           // 00000002673C: D86C4540 4D000007
	ds_read_b32 v78, v7 offset:17792                           // 000000026744: D86C4580 4E000007
	ds_read_b32 v79, v7 offset:17856                           // 00000002674C: D86C45C0 4F000007
	v_mul_f32_e32 v184, v45, v184                              // 000000026754: 0B71712D
	v_mul_f32_e32 v185, v45, v185                              // 000000026758: 0B73732D
	v_mul_f32_e32 v186, v45, v186                              // 00000002675C: 0B75752D
	v_mul_f32_e32 v187, v45, v187                              // 000000026760: 0B77772D
	v_mul_f32_e32 v188, v45, v188                              // 000000026764: 0B79792D
	v_mul_f32_e32 v189, v45, v189                              // 000000026768: 0B7B7B2D
	v_mul_f32_e32 v190, v45, v190                              // 00000002676C: 0B7D7D2D
	v_mul_f32_e32 v191, v45, v191                              // 000000026770: 0B7F7F2D
	s_waitcnt lgkmcnt(0)                                       // 000000026774: BF8CC07F
	v_max3_f32 v48, v64, v65, v48                              // 000000026778: D1D30030 04C28340
	v_max3_f32 v48, v66, v67, v48                              // 000000026780: D1D30030 04C28742
	v_max3_f32 v48, v68, v69, v48                              // 000000026788: D1D30030 04C28B44
	v_max3_f32 v48, v70, v71, v48                              // 000000026790: D1D30030 04C28F46
	v_max3_f32 v48, v72, v73, v48                              // 000000026798: D1D30030 04C29348
	v_max3_f32 v48, v74, v75, v48                              // 0000000267A0: D1D30030 04C2974A
	v_max3_f32 v48, v76, v77, v48                              // 0000000267A8: D1D30030 04C29B4C
	v_max3_f32 v48, v78, v79, v48                              // 0000000267B0: D1D30030 04C29F4E
	v_mov_b32_e32 v64, 0xff800000                              // 0000000267B8: 7E8002FF FF800000
	v_cmp_eq_u32_e64 s[40:41], v64, v12                        // 0000000267C0: D0CA0028 00021940
	s_nop 1                                                    // 0000000267C8: BF800001
	v_max_f32_e32 v15, v48, v12                                // 0000000267CC: 161E1930
	v_mul_f32_e32 v53, s64, v15                                // 0000000267D0: 0A6A1E40
	v_fma_f32 v128, v128, s64, -v53                            // 0000000267D4: D1CB0080 84D48180
	v_fma_f32 v129, v129, s64, -v53                            // 0000000267DC: D1CB0081 84D48181
	v_fma_f32 v130, v130, s64, -v53                            // 0000000267E4: D1CB0082 84D48182
	v_fma_f32 v131, v131, s64, -v53                            // 0000000267EC: D1CB0083 84D48183
	v_fma_f32 v132, v132, s64, -v53                            // 0000000267F4: D1CB0084 84D48184
	v_fma_f32 v133, v133, s64, -v53                            // 0000000267FC: D1CB0085 84D48185
	v_fma_f32 v134, v134, s64, -v53                            // 000000026804: D1CB0086 84D48186
	v_fma_f32 v135, v135, s64, -v53                            // 00000002680C: D1CB0087 84D48187
	v_fma_f32 v136, v136, s64, -v53                            // 000000026814: D1CB0088 84D48188
	v_fma_f32 v137, v137, s64, -v53                            // 00000002681C: D1CB0089 84D48189
	v_fma_f32 v138, v138, s64, -v53                            // 000000026824: D1CB008A 84D4818A
	v_fma_f32 v139, v139, s64, -v53                            // 00000002682C: D1CB008B 84D4818B
	v_fma_f32 v140, v140, s64, -v53                            // 000000026834: D1CB008C 84D4818C
	v_fma_f32 v141, v141, s64, -v53                            // 00000002683C: D1CB008D 84D4818D
	v_fma_f32 v142, v142, s64, -v53                            // 000000026844: D1CB008E 84D4818E
	v_fma_f32 v143, v143, s64, -v53                            // 00000002684C: D1CB008F 84D4818F
	v_exp_f32_e32 v128, v128                                   // 000000026854: 7F004180
	v_exp_f32_e32 v129, v129                                   // 000000026858: 7F024181
	v_exp_f32_e32 v130, v130                                   // 00000002685C: 7F044182
	v_exp_f32_e32 v131, v131                                   // 000000026860: 7F064183
	v_exp_f32_e32 v132, v132                                   // 000000026864: 7F084184
	v_exp_f32_e32 v133, v133                                   // 000000026868: 7F0A4185
	v_exp_f32_e32 v134, v134                                   // 00000002686C: 7F0C4186
	v_exp_f32_e32 v135, v135                                   // 000000026870: 7F0E4187
	v_exp_f32_e32 v136, v136                                   // 000000026874: 7F104188
	v_exp_f32_e32 v137, v137                                   // 000000026878: 7F124189
	v_exp_f32_e32 v138, v138                                   // 00000002687C: 7F14418A
	v_exp_f32_e32 v139, v139                                   // 000000026880: 7F16418B
	v_exp_f32_e32 v140, v140                                   // 000000026884: 7F18418C
	v_exp_f32_e32 v141, v141                                   // 000000026888: 7F1A418D
	v_exp_f32_e32 v142, v142                                   // 00000002688C: 7F1C418E
	v_exp_f32_e32 v143, v143                                   // 000000026890: 7F1E418F
	v_mul_f32_dpp v240, v252, v128 quad_perm:[0,0,0,0] row_mask:0xf bank_mask:0xf// 000000026894: 0BE100FA FF0000FC
	v_mul_f32_dpp v241, v252, v129 quad_perm:[1,1,1,1] row_mask:0xf bank_mask:0xf// 00000002689C: 0BE302FA FF0055FC
	v_mul_f32_dpp v242, v252, v130 quad_perm:[2,2,2,2] row_mask:0xf bank_mask:0xf// 0000000268A4: 0BE504FA FF00AAFC
	v_mul_f32_dpp v243, v252, v131 quad_perm:[3,3,3,3] row_mask:0xf bank_mask:0xf// 0000000268AC: 0BE706FA FF00FFFC
	v_mul_f32_dpp v244, v253, v132 quad_perm:[0,0,0,0] row_mask:0xf bank_mask:0xf// 0000000268B4: 0BE908FA FF0000FD
	v_mul_f32_dpp v245, v253, v133 quad_perm:[1,1,1,1] row_mask:0xf bank_mask:0xf// 0000000268BC: 0BEB0AFA FF0055FD
	v_mul_f32_dpp v246, v253, v134 quad_perm:[2,2,2,2] row_mask:0xf bank_mask:0xf// 0000000268C4: 0BED0CFA FF00AAFD
	v_mul_f32_dpp v247, v253, v135 quad_perm:[3,3,3,3] row_mask:0xf bank_mask:0xf// 0000000268CC: 0BEF0EFA FF00FFFD
	v_mul_f32_dpp v248, v254, v136 quad_perm:[0,0,0,0] row_mask:0xf bank_mask:0xf// 0000000268D4: 0BF110FA FF0000FE
	v_mul_f32_dpp v249, v254, v137 quad_perm:[1,1,1,1] row_mask:0xf bank_mask:0xf// 0000000268DC: 0BF312FA FF0055FE
	v_mul_f32_dpp v250, v254, v138 quad_perm:[2,2,2,2] row_mask:0xf bank_mask:0xf// 0000000268E4: 0BF514FA FF00AAFE
	v_mul_f32_dpp v251, v254, v139 quad_perm:[3,3,3,3] row_mask:0xf bank_mask:0xf// 0000000268EC: 0BF716FA FF00FFFE
	v_mul_f32_dpp v252, v255, v140 quad_perm:[0,0,0,0] row_mask:0xf bank_mask:0xf// 0000000268F4: 0BF918FA FF0000FF
	v_mul_f32_dpp v253, v255, v141 quad_perm:[1,1,1,1] row_mask:0xf bank_mask:0xf// 0000000268FC: 0BFB1AFA FF0055FF
	v_mul_f32_dpp v254, v255, v142 quad_perm:[2,2,2,2] row_mask:0xf bank_mask:0xf// 000000026904: 0BFD1CFA FF00AAFF
	v_mul_f32_dpp v255, v255, v143 quad_perm:[3,3,3,3] row_mask:0xf bank_mask:0xf// 00000002690C: 0BFF1EFA FF00FFFF
	v_mov_b32_e32 v48, 0x358637bd                              // 000000026914: 7E6002FF 358637BD
	v_max3_f32 v48, |v240|, |v241|, v48                        // 00000002691C: D1D30330 04C3E3F0
	v_max3_f32 v48, |v242|, |v243|, v48                        // 000000026924: D1D30330 04C3E7F2
	v_max3_f32 v48, |v244|, |v245|, v48                        // 00000002692C: D1D30330 04C3EBF4
	v_max3_f32 v48, |v246|, |v247|, v48                        // 000000026934: D1D30330 04C3EFF6
	v_max3_f32 v48, |v248|, |v249|, v48                        // 00000002693C: D1D30330 04C3F3F8
	v_max3_f32 v48, |v250|, |v251|, v48                        // 000000026944: D1D30330 04C3F7FA
	v_max3_f32 v48, |v252|, |v253|, v48                        // 00000002694C: D1D30330 04C3FBFC
	v_max3_f32 v48, |v254|, |v255|, v48                        // 000000026954: D1D30330 04C3FFFE
	ds_write_b32 v8, v48 offset:20992                          // 00000002695C: D81A5200 00003008
	v_sub_f32_e32 v50, v12, v15                                // 000000026964: 04641F0C
	v_cndmask_b32_e64 v50, v50, 0, s[40:41]                    // 000000026968: D1000032 00A10132
	v_mov_b32_e32 v12, v15                                     // 000000026970: 7E18030F
	v_mul_f32_e32 v50, s64, v50                                // 000000026974: 0A646440
	v_exp_f32_e32 v50, v50                                     // 000000026978: 7E644132
	s_waitcnt lgkmcnt(0)                                       // 00000002697C: BF8CC07F
	s_barrier                                                  // 000000026980: BF8A0000
	ds_read_b32 v64, v7 offset:20992                           // 000000026984: D86C5200 40000007
	ds_read_b32 v65, v7 offset:21056                           // 00000002698C: D86C5240 41000007
	ds_read_b32 v66, v7 offset:21120                           // 000000026994: D86C5280 42000007
	ds_read_b32 v67, v7 offset:21184                           // 00000002699C: D86C52C0 43000007
	ds_read_b32 v68, v7 offset:21248                           // 0000000269A4: D86C5300 44000007
	ds_read_b32 v69, v7 offset:21312                           // 0000000269AC: D86C5340 45000007
	ds_read_b32 v70, v7 offset:21376                           // 0000000269B4: D86C5380 46000007
	ds_read_b32 v71, v7 offset:21440                           // 0000000269BC: D86C53C0 47000007
	ds_read_b32 v72, v7 offset:21504                           // 0000000269C4: D86C5400 48000007
	ds_read_b32 v73, v7 offset:21568                           // 0000000269CC: D86C5440 49000007
	ds_read_b32 v74, v7 offset:21632                           // 0000000269D4: D86C5480 4A000007
	ds_read_b32 v75, v7 offset:21696                           // 0000000269DC: D86C54C0 4B000007
	ds_read_b32 v76, v7 offset:21760                           // 0000000269E4: D86C5500 4C000007
	ds_read_b32 v77, v7 offset:21824                           // 0000000269EC: D86C5540 4D000007
	ds_read_b32 v78, v7 offset:21888                           // 0000000269F4: D86C5580 4E000007
	ds_read_b32 v79, v7 offset:21952                           // 0000000269FC: D86C55C0 4F000007
	v_mul_f32_e32 v39, v50, v39                                // 000000026A04: 0A4E4F32
	v_mov_b32_e32 v15, v128                                    // 000000026A08: 7E1E0380
	v_add_f32_e32 v15, v129, v15                               // 000000026A0C: 021E1F81
	v_add_f32_e32 v15, v130, v15                               // 000000026A10: 021E1F82
	v_add_f32_e32 v15, v131, v15                               // 000000026A14: 021E1F83
	v_add_f32_e32 v15, v132, v15                               // 000000026A18: 021E1F84
	v_add_f32_e32 v15, v133, v15                               // 000000026A1C: 021E1F85
	v_add_f32_e32 v15, v134, v15                               // 000000026A20: 021E1F86
	v_add_f32_e32 v15, v135, v15                               // 000000026A24: 021E1F87
	v_add_f32_e32 v15, v136, v15                               // 000000026A28: 021E1F88
	v_add_f32_e32 v15, v137, v15                               // 000000026A2C: 021E1F89
	v_add_f32_e32 v15, v138, v15                               // 000000026A30: 021E1F8A
	v_add_f32_e32 v15, v139, v15                               // 000000026A34: 021E1F8B
	v_add_f32_e32 v15, v140, v15                               // 000000026A38: 021E1F8C
	v_add_f32_e32 v15, v141, v15                               // 000000026A3C: 021E1F8D
	v_add_f32_e32 v15, v142, v15                               // 000000026A40: 021E1F8E
	v_add_f32_e32 v15, v143, v15                               // 000000026A44: 021E1F8F
	v_add_f32_e32 v39, v15, v39                                // 000000026A48: 024E4F0F
	s_waitcnt lgkmcnt(0)                                       // 000000026A4C: BF8CC07F
	v_max3_f32 v48, |v64|, |v65|, v48                          // 000000026A50: D1D30330 04C28340
	v_max3_f32 v48, |v66|, |v67|, v48                          // 000000026A58: D1D30330 04C28742
	v_max3_f32 v48, |v68|, |v69|, v48                          // 000000026A60: D1D30330 04C28B44
	v_max3_f32 v48, |v70|, |v71|, v48                          // 000000026A68: D1D30330 04C28F46
	v_max3_f32 v48, |v72|, |v73|, v48                          // 000000026A70: D1D30330 04C29348
	v_max3_f32 v48, |v74|, |v75|, v48                          // 000000026A78: D1D30330 04C2974A
	v_max3_f32 v48, |v76|, |v77|, v48                          // 000000026A80: D1D30330 04C29B4C
	v_max3_f32 v48, |v78|, |v79|, v48                          // 000000026A88: D1D30330 04C29F4E
	s_nop 2                                                    // 000000026A90: BF800002
	v_rcp_f32_e32 v48, v48                                     // 000000026A94: 7E604530
	s_nop 1                                                    // 000000026A98: BF800001
	v_mul_f32_e32 v48, 0x43e00000, v48                         // 000000026A9C: 0A6060FF 43E00000
	v_mul_f32_e32 v128, v48, v240                              // 000000026AA4: 0B01E130
	v_mul_f32_e32 v129, v48, v241                              // 000000026AA8: 0B03E330
	v_mul_f32_e32 v130, v48, v242                              // 000000026AAC: 0B05E530
	v_mul_f32_e32 v131, v48, v243                              // 000000026AB0: 0B07E730
	v_mul_f32_e32 v132, v48, v244                              // 000000026AB4: 0B09E930
	v_mul_f32_e32 v133, v48, v245                              // 000000026AB8: 0B0BEB30
	v_mul_f32_e32 v134, v48, v246                              // 000000026ABC: 0B0DED30
	v_mul_f32_e32 v135, v48, v247                              // 000000026AC0: 0B0FEF30
	v_mul_f32_e32 v136, v48, v248                              // 000000026AC4: 0B11F130
	v_mul_f32_e32 v137, v48, v249                              // 000000026AC8: 0B13F330
	v_mul_f32_e32 v138, v48, v250                              // 000000026ACC: 0B15F530
	v_mul_f32_e32 v139, v48, v251                              // 000000026AD0: 0B17F730
	v_mul_f32_e32 v140, v48, v252                              // 000000026AD4: 0B19F930
	v_mul_f32_e32 v141, v48, v253                              // 000000026AD8: 0B1BFB30
	v_mul_f32_e32 v142, v48, v254                              // 000000026ADC: 0B1DFD30
	v_mul_f32_e32 v143, v48, v255                              // 000000026AE0: 0B1FFF30
	v_cvt_pk_fp8_f32 v128, v128, v129                          // 000000026AE4: D2A20080 00030380
	v_cvt_pk_fp8_f32 v128, v130, v131 op_sel:[0,0,1]           // 000000026AEC: D2A24080 00030782
	v_cvt_pk_fp8_f32 v129, v132, v133                          // 000000026AF4: D2A20081 00030B84
	v_cvt_pk_fp8_f32 v129, v134, v135 op_sel:[0,0,1]           // 000000026AFC: D2A24081 00030F86
	v_cvt_pk_fp8_f32 v130, v136, v137                          // 000000026B04: D2A20082 00031388
	v_cvt_pk_fp8_f32 v130, v138, v139 op_sel:[0,0,1]           // 000000026B0C: D2A24082 0003178A
	v_cvt_pk_fp8_f32 v131, v140, v141                          // 000000026B14: D2A20083 00031B8C
	v_cvt_pk_fp8_f32 v131, v142, v143 op_sel:[0,0,1]           // 000000026B1C: D2A24083 00031F8E
	ds_write_b32 v10, v128 offset:29184                        // 000000026B24: D81A7200 0000800A
	ds_write_b32 v10, v129 offset:30208                        // 000000026B2C: D81A7600 0000810A
	ds_write_b32 v10, v130 offset:31232                        // 000000026B34: D81A7A00 0000820A
	ds_write_b32 v10, v131 offset:32256                        // 000000026B3C: D81A7E00 0000830A
	v_add_f32_e32 v216, v216, v184                             // 000000026B44: 03B171D8
	v_add_f32_e32 v217, v217, v185                             // 000000026B48: 03B373D9
	v_add_f32_e32 v218, v218, v186                             // 000000026B4C: 03B575DA
	v_add_f32_e32 v219, v219, v187                             // 000000026B50: 03B777DB
	v_add_f32_e32 v220, v220, v188                             // 000000026B54: 03B979DC
	v_add_f32_e32 v221, v221, v189                             // 000000026B58: 03BB7BDD
	v_add_f32_e32 v222, v222, v190                             // 000000026B5C: 03BD7DDE
	v_add_f32_e32 v223, v223, v191                             // 000000026B60: 03BF7FDF
	v_rcp_f32_e32 v45, v48                                     // 000000026B64: 7E5A4530
	s_waitcnt lgkmcnt(0)                                       // 000000026B68: BF8CC07F
	s_barrier                                                  // 000000026B6C: BF8A0000
	ds_read_b64 v[128:129], v9 offset:29184                    // 000000026B70: D8EC7200 80000009
	ds_read_b64 v[130:131], v9 offset:29312                    // 000000026B78: D8EC7280 82000009
	ds_read_b64 v[132:133], v9 offset:30208                    // 000000026B80: D8EC7600 84000009
	ds_read_b64 v[134:135], v9 offset:30336                    // 000000026B88: D8EC7680 86000009
	ds_read_b64 v[136:137], v9 offset:31232                    // 000000026B90: D8EC7A00 88000009
	ds_read_b64 v[138:139], v9 offset:31360                    // 000000026B98: D8EC7A80 8A000009
	ds_read_b64 v[140:141], v9 offset:32256                    // 000000026BA0: D8EC7E00 8C000009
	ds_read_b64 v[142:143], v9 offset:32384                    // 000000026BA8: D8EC7E80 8E000009
	v_mov_b32_dpp v64, v43 row_shr:4 row_mask:0xf bank_mask:0xf// 000000026BB0: 7E8002FA FF01142B
	v_mov_b32_dpp v65, v43 row_shl:4 row_mask:0xf bank_mask:0xf// 000000026BB8: 7E8202FA FF01042B
	v_cndmask_b32_e64 v248, v43, v64, s[44:45]                 // 000000026BC0: D10000F8 00B2812B
	v_cndmask_b32_e64 v249, v65, v43, s[44:45]                 // 000000026BC8: D10000F9 00B25741
	v_mov_b32_dpp v64, v248 row_shr:8 row_mask:0xf bank_mask:0xf// 000000026BD0: 7E8002FA FF0118F8
	v_mov_b32_dpp v65, v248 row_shl:8 row_mask:0xf bank_mask:0xf// 000000026BD8: 7E8202FA FF0108F8
	v_mov_b32_dpp v66, v249 row_shr:8 row_mask:0xf bank_mask:0xf// 000000026BE0: 7E8402FA FF0118F9
	v_mov_b32_dpp v67, v249 row_shl:8 row_mask:0xf bank_mask:0xf// 000000026BE8: 7E8602FA FF0108F9
	v_mov_b32_e32 v68, v248                                    // 000000026BF0: 7E8803F8
	v_mov_b32_e32 v69, v249                                    // 000000026BF4: 7E8A03F9
	v_cndmask_b32_e64 v248, v68, v64, s[42:43]                 // 000000026BF8: D10000F8 00AA8144
	v_cndmask_b32_e64 v250, v68, v65, s[78:79]                 // 000000026C00: D10000FA 013A8344
	v_cndmask_b32_e64 v249, v69, v66, s[42:43]                 // 000000026C08: D10000F9 00AA8545
	v_cndmask_b32_e64 v251, v69, v67, s[78:79]                 // 000000026C10: D10000FB 013A8745
	v_mov_b32_dpp v64, v58 row_shr:4 row_mask:0xf bank_mask:0xf// 000000026C18: 7E8002FA FF01143A
	v_mov_b32_dpp v65, v58 row_shl:4 row_mask:0xf bank_mask:0xf// 000000026C20: 7E8202FA FF01043A
	v_cndmask_b32_e64 v252, v58, v64, s[44:45]                 // 000000026C28: D10000FC 00B2813A
	v_cndmask_b32_e64 v253, v65, v58, s[44:45]                 // 000000026C30: D10000FD 00B27541
	v_mov_b32_dpp v64, v252 row_shr:8 row_mask:0xf bank_mask:0xf// 000000026C38: 7E8002FA FF0118FC
	v_mov_b32_dpp v65, v252 row_shl:8 row_mask:0xf bank_mask:0xf// 000000026C40: 7E8202FA FF0108FC
	v_mov_b32_dpp v66, v253 row_shr:8 row_mask:0xf bank_mask:0xf// 000000026C48: 7E8402FA FF0118FD
	v_mov_b32_dpp v67, v253 row_shl:8 row_mask:0xf bank_mask:0xf// 000000026C50: 7E8602FA FF0108FD
	v_mov_b32_e32 v68, v252                                    // 000000026C58: 7E8803FC
	v_mov_b32_e32 v69, v253                                    // 000000026C5C: 7E8A03FD
	v_cndmask_b32_e64 v252, v68, v64, s[42:43]                 // 000000026C60: D10000FC 00AA8144
	v_cndmask_b32_e64 v254, v68, v65, s[78:79]                 // 000000026C68: D10000FE 013A8344
	v_cndmask_b32_e64 v253, v69, v66, s[42:43]                 // 000000026C70: D10000FD 00AA8545
	v_cndmask_b32_e64 v255, v69, v67, s[78:79]                 // 000000026C78: D10000FF 013A8745
	v_mul_f32_e32 v144, v20, v144                              // 000000026C80: 0B212114
	v_mul_f32_e32 v145, v20, v145                              // 000000026C84: 0B232314
	v_mul_f32_e32 v146, v20, v146                              // 000000026C88: 0B252514
	v_mul_f32_e32 v147, v20, v147                              // 000000026C8C: 0B272714
	v_mul_f32_e32 v148, v20, v148                              // 000000026C90: 0B292914
	v_mul_f32_e32 v149, v20, v149                              // 000000026C94: 0B2B2B14
	v_mul_f32_e32 v150, v20, v150                              // 000000026C98: 0B2D2D14
	v_mul_f32_e32 v151, v20, v151                              // 000000026C9C: 0B2F2F14
	v_mul_f32_e32 v152, v20, v152                              // 000000026CA0: 0B313114
	v_mul_f32_e32 v153, v20, v153                              // 000000026CA4: 0B333314
	v_mul_f32_e32 v154, v20, v154                              // 000000026CA8: 0B353514
	v_mul_f32_e32 v155, v20, v155                              // 000000026CAC: 0B373714
	v_mul_f32_e32 v156, v20, v156                              // 000000026CB0: 0B393914
	v_mul_f32_e32 v157, v20, v157                              // 000000026CB4: 0B3B3B14
	v_mul_f32_e32 v158, v20, v158                              // 000000026CB8: 0B3D3D14
	v_mul_f32_e32 v159, v20, v159                              // 000000026CBC: 0B3F3F14
	v_mul_f32_dpp v144, v248, v144 quad_perm:[0,0,0,0] row_mask:0xf bank_mask:0xf// 000000026CC0: 0B2120FA FF0000F8
	v_mul_f32_dpp v145, v248, v145 quad_perm:[1,1,1,1] row_mask:0xf bank_mask:0xf// 000000026CC8: 0B2322FA FF0055F8
	v_mul_f32_dpp v146, v248, v146 quad_perm:[2,2,2,2] row_mask:0xf bank_mask:0xf// 000000026CD0: 0B2524FA FF00AAF8
	v_mul_f32_dpp v147, v248, v147 quad_perm:[3,3,3,3] row_mask:0xf bank_mask:0xf// 000000026CD8: 0B2726FA FF00FFF8
	v_mul_f32_dpp v148, v249, v148 quad_perm:[0,0,0,0] row_mask:0xf bank_mask:0xf// 000000026CE0: 0B2928FA FF0000F9
	v_mul_f32_dpp v149, v249, v149 quad_perm:[1,1,1,1] row_mask:0xf bank_mask:0xf// 000000026CE8: 0B2B2AFA FF0055F9
	v_mul_f32_dpp v150, v249, v150 quad_perm:[2,2,2,2] row_mask:0xf bank_mask:0xf// 000000026CF0: 0B2D2CFA FF00AAF9
	v_mul_f32_dpp v151, v249, v151 quad_perm:[3,3,3,3] row_mask:0xf bank_mask:0xf// 000000026CF8: 0B2F2EFA FF00FFF9
	v_mul_f32_dpp v152, v250, v152 quad_perm:[0,0,0,0] row_mask:0xf bank_mask:0xf// 000000026D00: 0B3130FA FF0000FA
	v_mul_f32_dpp v153, v250, v153 quad_perm:[1,1,1,1] row_mask:0xf bank_mask:0xf// 000000026D08: 0B3332FA FF0055FA
	v_mul_f32_dpp v154, v250, v154 quad_perm:[2,2,2,2] row_mask:0xf bank_mask:0xf// 000000026D10: 0B3534FA FF00AAFA
	v_mul_f32_dpp v155, v250, v155 quad_perm:[3,3,3,3] row_mask:0xf bank_mask:0xf// 000000026D18: 0B3736FA FF00FFFA
	v_mul_f32_dpp v156, v251, v156 quad_perm:[0,0,0,0] row_mask:0xf bank_mask:0xf// 000000026D20: 0B3938FA FF0000FB
	v_mul_f32_dpp v157, v251, v157 quad_perm:[1,1,1,1] row_mask:0xf bank_mask:0xf// 000000026D28: 0B3B3AFA FF0055FB
	v_mul_f32_dpp v158, v251, v158 quad_perm:[2,2,2,2] row_mask:0xf bank_mask:0xf// 000000026D30: 0B3D3CFA FF00AAFB
	v_mul_f32_dpp v159, v251, v159 quad_perm:[3,3,3,3] row_mask:0xf bank_mask:0xf// 000000026D38: 0B3F3EFA FF00FFFB
	s_cmp_le_i32 s90, s89                                      // 000000026D40: BF05595A
	s_cbranch_scc1 label_9343                                  // 000000026D44: BF850071
	v_mov_b32_e32 v66, 0xff800000                              // 000000026D48: 7E8402FF FF800000
	s_mov_b32 s60, s90                                         // 000000026D50: BEBC005A
	s_add_u32 s61, s89, 0xff                                   // 000000026D54: 803DFF59 000000FF
	v_mov_b32_e32 v64, s61                                     // 000000026D5C: 7E80023D
	v_lshrrev_b32_e32 v240, 4, v0                              // 000000026D60: 21E00084
	v_mul_i32_i24_e32 v240, 4, v240                            // 000000026D64: 0DE1E084
	v_add_u32_e32 v240, s60, v240                              // 000000026D68: 69E1E03C
	s_mov_b32 s61, 2                                           // 000000026D6C: BEBD0082
	s_mul_i32 s60, 16, s7                                      // 000000026D70: 923C0790
	v_sub_u32_e64 v240, v240, s61                              // 000000026D74: D13500F0 00007BF0
	v_add_u32_e32 v240, s60, v240                              // 000000026D7C: 69E1E03C
	v_add_u32_e32 v241, 1, v240                                // 000000026D80: 69E3E081
	v_add_u32_e32 v242, 2, v240                                // 000000026D84: 69E5E082
	v_add_u32_e32 v243, 3, v240                                // 000000026D88: 69E7E083
	v_cmp_le_u32_e64 s[40:41], v240, v64                       // 000000026D8C: D0CB0028 000281F0
	v_add_u32_e32 v240, 64, v240                               // 000000026D94: 69E1E0C0
	s_nop 0                                                    // 000000026D98: BF800000
	v_cndmask_b32_e64 v144, v66, v144, s[40:41]                // 000000026D9C: D1000090 00A32142
	v_cmp_le_u32_e64 s[40:41], v241, v64                       // 000000026DA4: D0CB0028 000281F1
	v_add_u32_e32 v241, 64, v241                               // 000000026DAC: 69E3E2C0
	s_nop 0                                                    // 000000026DB0: BF800000
	v_cndmask_b32_e64 v145, v66, v145, s[40:41]                // 000000026DB4: D1000091 00A32342
	v_cmp_le_u32_e64 s[40:41], v242, v64                       // 000000026DBC: D0CB0028 000281F2
	v_add_u32_e32 v242, 64, v242                               // 000000026DC4: 69E5E4C0
	s_nop 0                                                    // 000000026DC8: BF800000
	v_cndmask_b32_e64 v146, v66, v146, s[40:41]                // 000000026DCC: D1000092 00A32542
	v_cmp_le_u32_e64 s[40:41], v243, v64                       // 000000026DD4: D0CB0028 000281F3
	v_add_u32_e32 v243, 64, v243                               // 000000026DDC: 69E7E6C0
	s_nop 0                                                    // 000000026DE0: BF800000
	v_cndmask_b32_e64 v147, v66, v147, s[40:41]                // 000000026DE4: D1000093 00A32742
	v_cmp_le_u32_e64 s[40:41], v240, v64                       // 000000026DEC: D0CB0028 000281F0
	v_add_u32_e32 v240, 64, v240                               // 000000026DF4: 69E1E0C0
	s_nop 0                                                    // 000000026DF8: BF800000
	v_cndmask_b32_e64 v148, v66, v148, s[40:41]                // 000000026DFC: D1000094 00A32942
	v_cmp_le_u32_e64 s[40:41], v241, v64                       // 000000026E04: D0CB0028 000281F1
	v_add_u32_e32 v241, 64, v241                               // 000000026E0C: 69E3E2C0
	s_nop 0                                                    // 000000026E10: BF800000
	v_cndmask_b32_e64 v149, v66, v149, s[40:41]                // 000000026E14: D1000095 00A32B42
	v_cmp_le_u32_e64 s[40:41], v242, v64                       // 000000026E1C: D0CB0028 000281F2
	v_add_u32_e32 v242, 64, v242                               // 000000026E24: 69E5E4C0
	s_nop 0                                                    // 000000026E28: BF800000
	v_cndmask_b32_e64 v150, v66, v150, s[40:41]                // 000000026E2C: D1000096 00A32D42
	v_cmp_le_u32_e64 s[40:41], v243, v64                       // 000000026E34: D0CB0028 000281F3
	v_add_u32_e32 v243, 64, v243                               // 000000026E3C: 69E7E6C0
	s_nop 0                                                    // 000000026E40: BF800000
	v_cndmask_b32_e64 v151, v66, v151, s[40:41]                // 000000026E44: D1000097 00A32F42
	v_cmp_le_u32_e64 s[40:41], v240, v64                       // 000000026E4C: D0CB0028 000281F0
	v_add_u32_e32 v240, 64, v240                               // 000000026E54: 69E1E0C0
	s_nop 0                                                    // 000000026E58: BF800000
	v_cndmask_b32_e64 v152, v66, v152, s[40:41]                // 000000026E5C: D1000098 00A33142
	v_cmp_le_u32_e64 s[40:41], v241, v64                       // 000000026E64: D0CB0028 000281F1
	v_add_u32_e32 v241, 64, v241                               // 000000026E6C: 69E3E2C0
	s_nop 0                                                    // 000000026E70: BF800000
	v_cndmask_b32_e64 v153, v66, v153, s[40:41]                // 000000026E74: D1000099 00A33342
	v_cmp_le_u32_e64 s[40:41], v242, v64                       // 000000026E7C: D0CB0028 000281F2
	v_add_u32_e32 v242, 64, v242                               // 000000026E84: 69E5E4C0
	s_nop 0                                                    // 000000026E88: BF800000
	v_cndmask_b32_e64 v154, v66, v154, s[40:41]                // 000000026E8C: D100009A 00A33542
	v_cmp_le_u32_e64 s[40:41], v243, v64                       // 000000026E94: D0CB0028 000281F3
	v_add_u32_e32 v243, 64, v243                               // 000000026E9C: 69E7E6C0
	s_nop 0                                                    // 000000026EA0: BF800000
	v_cndmask_b32_e64 v155, v66, v155, s[40:41]                // 000000026EA4: D100009B 00A33742
	v_cmp_le_u32_e64 s[40:41], v240, v64                       // 000000026EAC: D0CB0028 000281F0
	v_add_u32_e32 v240, 64, v240                               // 000000026EB4: 69E1E0C0
	s_nop 0                                                    // 000000026EB8: BF800000
	v_cndmask_b32_e64 v156, v66, v156, s[40:41]                // 000000026EBC: D100009C 00A33942
	v_cmp_le_u32_e64 s[40:41], v241, v64                       // 000000026EC4: D0CB0028 000281F1
	v_add_u32_e32 v241, 64, v241                               // 000000026ECC: 69E3E2C0
	s_nop 0                                                    // 000000026ED0: BF800000
	v_cndmask_b32_e64 v157, v66, v157, s[40:41]                // 000000026ED4: D100009D 00A33B42
	v_cmp_le_u32_e64 s[40:41], v242, v64                       // 000000026EDC: D0CB0028 000281F2
	v_add_u32_e32 v242, 64, v242                               // 000000026EE4: 69E5E4C0
	s_nop 0                                                    // 000000026EE8: BF800000
	v_cndmask_b32_e64 v158, v66, v158, s[40:41]                // 000000026EEC: D100009E 00A33D42
	v_cmp_le_u32_e64 s[40:41], v243, v64                       // 000000026EF4: D0CB0028 000281F3
	v_add_u32_e32 v243, 64, v243                               // 000000026EFC: 69E7E6C0
	s_nop 0                                                    // 000000026F00: BF800000
	v_cndmask_b32_e64 v159, v66, v159, s[40:41]                // 000000026F04: D100009F 00A33F42

0000000000026f0c <label_9343>:
	v_mov_b32_e32 v48, v144                                    // 000000026F0C: 7E600390
	v_max3_f32 v48, v144, v145, v48                            // 000000026F10: D1D30030 04C32390
	v_max3_f32 v48, v146, v147, v48                            // 000000026F18: D1D30030 04C32792
	v_max3_f32 v48, v148, v149, v48                            // 000000026F20: D1D30030 04C32B94
	v_max3_f32 v48, v150, v151, v48                            // 000000026F28: D1D30030 04C32F96
	v_max3_f32 v48, v152, v153, v48                            // 000000026F30: D1D30030 04C33398
	v_max3_f32 v48, v154, v155, v48                            // 000000026F38: D1D30030 04C3379A
	v_max3_f32 v48, v156, v157, v48                            // 000000026F40: D1D30030 04C33B9C
	v_max3_f32 v48, v158, v159, v48                            // 000000026F48: D1D30030 04C33F9E
	ds_write_b32 v8, v48 offset:16896                          // 000000026F50: D81A4200 00003008
	v_mul_f32_e32 v224, v51, v224                              // 000000026F58: 0BC1C133
	v_mul_f32_e32 v225, v51, v225                              // 000000026F5C: 0BC3C333
	v_mul_f32_e32 v226, v51, v226                              // 000000026F60: 0BC5C533
	v_mul_f32_e32 v227, v51, v227                              // 000000026F64: 0BC7C733
	v_mul_f32_e32 v228, v51, v228                              // 000000026F68: 0BC9C933
	v_mul_f32_e32 v229, v51, v229                              // 000000026F6C: 0BCBCB33
	v_mul_f32_e32 v230, v51, v230                              // 000000026F70: 0BCDCD33
	v_mul_f32_e32 v231, v51, v231                              // 000000026F74: 0BCFCF33
	s_waitcnt lgkmcnt(0)                                       // 000000026F78: BF8CC07F
	s_barrier                                                  // 000000026F7C: BF8A0000
	ds_read_b32 v64, v7 offset:16896                           // 000000026F80: D86C4200 40000007
	ds_read_b32 v65, v7 offset:16960                           // 000000026F88: D86C4240 41000007
	ds_read_b32 v66, v7 offset:17024                           // 000000026F90: D86C4280 42000007
	ds_read_b32 v67, v7 offset:17088                           // 000000026F98: D86C42C0 43000007
	ds_read_b32 v68, v7 offset:17152                           // 000000026FA0: D86C4300 44000007
	ds_read_b32 v69, v7 offset:17216                           // 000000026FA8: D86C4340 45000007
	ds_read_b32 v70, v7 offset:17280                           // 000000026FB0: D86C4380 46000007
	ds_read_b32 v71, v7 offset:17344                           // 000000026FB8: D86C43C0 47000007
	ds_read_b32 v72, v7 offset:17408                           // 000000026FC0: D86C4400 48000007
	ds_read_b32 v73, v7 offset:17472                           // 000000026FC8: D86C4440 49000007
	ds_read_b32 v74, v7 offset:17536                           // 000000026FD0: D86C4480 4A000007
	ds_read_b32 v75, v7 offset:17600                           // 000000026FD8: D86C44C0 4B000007
	ds_read_b32 v76, v7 offset:17664                           // 000000026FE0: D86C4500 4C000007
	ds_read_b32 v77, v7 offset:17728                           // 000000026FE8: D86C4540 4D000007
	ds_read_b32 v78, v7 offset:17792                           // 000000026FF0: D86C4580 4E000007
	ds_read_b32 v79, v7 offset:17856                           // 000000026FF8: D86C45C0 4F000007
	v_mul_f32_e32 v192, v46, v192                              // 000000027000: 0B81812E
	v_mul_f32_e32 v193, v46, v193                              // 000000027004: 0B83832E
	v_mul_f32_e32 v194, v46, v194                              // 000000027008: 0B85852E
	v_mul_f32_e32 v195, v46, v195                              // 00000002700C: 0B87872E
	v_mul_f32_e32 v196, v46, v196                              // 000000027010: 0B89892E
	v_mul_f32_e32 v197, v46, v197                              // 000000027014: 0B8B8B2E
	v_mul_f32_e32 v198, v46, v198                              // 000000027018: 0B8D8D2E
	v_mul_f32_e32 v199, v46, v199                              // 00000002701C: 0B8F8F2E
	s_waitcnt lgkmcnt(0)                                       // 000000027020: BF8CC07F
	v_max3_f32 v48, v64, v65, v48                              // 000000027024: D1D30030 04C28340
	v_max3_f32 v48, v66, v67, v48                              // 00000002702C: D1D30030 04C28742
	v_max3_f32 v48, v68, v69, v48                              // 000000027034: D1D30030 04C28B44
	v_max3_f32 v48, v70, v71, v48                              // 00000002703C: D1D30030 04C28F46
	v_max3_f32 v48, v72, v73, v48                              // 000000027044: D1D30030 04C29348
	v_max3_f32 v48, v74, v75, v48                              // 00000002704C: D1D30030 04C2974A
	v_max3_f32 v48, v76, v77, v48                              // 000000027054: D1D30030 04C29B4C
	v_max3_f32 v48, v78, v79, v48                              // 00000002705C: D1D30030 04C29F4E
	v_mov_b32_e32 v64, 0xff800000                              // 000000027064: 7E8002FF FF800000
	v_cmp_eq_u32_e64 s[40:41], v64, v13                        // 00000002706C: D0CA0028 00021B40
	s_nop 1                                                    // 000000027074: BF800001
	v_max_f32_e32 v15, v48, v13                                // 000000027078: 161E1B30
	v_mul_f32_e32 v53, s64, v15                                // 00000002707C: 0A6A1E40
	v_fma_f32 v144, v144, s64, -v53                            // 000000027080: D1CB0090 84D48190
	v_fma_f32 v145, v145, s64, -v53                            // 000000027088: D1CB0091 84D48191
	v_fma_f32 v146, v146, s64, -v53                            // 000000027090: D1CB0092 84D48192
	v_fma_f32 v147, v147, s64, -v53                            // 000000027098: D1CB0093 84D48193
	v_fma_f32 v148, v148, s64, -v53                            // 0000000270A0: D1CB0094 84D48194
	v_fma_f32 v149, v149, s64, -v53                            // 0000000270A8: D1CB0095 84D48195
	v_fma_f32 v150, v150, s64, -v53                            // 0000000270B0: D1CB0096 84D48196
	v_fma_f32 v151, v151, s64, -v53                            // 0000000270B8: D1CB0097 84D48197
	v_fma_f32 v152, v152, s64, -v53                            // 0000000270C0: D1CB0098 84D48198
	v_fma_f32 v153, v153, s64, -v53                            // 0000000270C8: D1CB0099 84D48199
	v_fma_f32 v154, v154, s64, -v53                            // 0000000270D0: D1CB009A 84D4819A
	v_fma_f32 v155, v155, s64, -v53                            // 0000000270D8: D1CB009B 84D4819B
	v_fma_f32 v156, v156, s64, -v53                            // 0000000270E0: D1CB009C 84D4819C
	v_fma_f32 v157, v157, s64, -v53                            // 0000000270E8: D1CB009D 84D4819D
	v_fma_f32 v158, v158, s64, -v53                            // 0000000270F0: D1CB009E 84D4819E
	v_fma_f32 v159, v159, s64, -v53                            // 0000000270F8: D1CB009F 84D4819F
	v_exp_f32_e32 v144, v144                                   // 000000027100: 7F204190
	v_exp_f32_e32 v145, v145                                   // 000000027104: 7F224191
	v_exp_f32_e32 v146, v146                                   // 000000027108: 7F244192
	v_exp_f32_e32 v147, v147                                   // 00000002710C: 7F264193
	v_exp_f32_e32 v148, v148                                   // 000000027110: 7F284194
	v_exp_f32_e32 v149, v149                                   // 000000027114: 7F2A4195
	v_exp_f32_e32 v150, v150                                   // 000000027118: 7F2C4196
	v_exp_f32_e32 v151, v151                                   // 00000002711C: 7F2E4197
	v_exp_f32_e32 v152, v152                                   // 000000027120: 7F304198
	v_exp_f32_e32 v153, v153                                   // 000000027124: 7F324199
	v_exp_f32_e32 v154, v154                                   // 000000027128: 7F34419A
	v_exp_f32_e32 v155, v155                                   // 00000002712C: 7F36419B
	v_exp_f32_e32 v156, v156                                   // 000000027130: 7F38419C
	v_exp_f32_e32 v157, v157                                   // 000000027134: 7F3A419D
	v_exp_f32_e32 v158, v158                                   // 000000027138: 7F3C419E
	v_exp_f32_e32 v159, v159                                   // 00000002713C: 7F3E419F
	v_mul_f32_dpp v240, v252, v144 quad_perm:[0,0,0,0] row_mask:0xf bank_mask:0xf// 000000027140: 0BE120FA FF0000FC
	v_mul_f32_dpp v241, v252, v145 quad_perm:[1,1,1,1] row_mask:0xf bank_mask:0xf// 000000027148: 0BE322FA FF0055FC
	v_mul_f32_dpp v242, v252, v146 quad_perm:[2,2,2,2] row_mask:0xf bank_mask:0xf// 000000027150: 0BE524FA FF00AAFC
	v_mul_f32_dpp v243, v252, v147 quad_perm:[3,3,3,3] row_mask:0xf bank_mask:0xf// 000000027158: 0BE726FA FF00FFFC
	v_mul_f32_dpp v244, v253, v148 quad_perm:[0,0,0,0] row_mask:0xf bank_mask:0xf// 000000027160: 0BE928FA FF0000FD
	v_mul_f32_dpp v245, v253, v149 quad_perm:[1,1,1,1] row_mask:0xf bank_mask:0xf// 000000027168: 0BEB2AFA FF0055FD
	v_mul_f32_dpp v246, v253, v150 quad_perm:[2,2,2,2] row_mask:0xf bank_mask:0xf// 000000027170: 0BED2CFA FF00AAFD
	v_mul_f32_dpp v247, v253, v151 quad_perm:[3,3,3,3] row_mask:0xf bank_mask:0xf// 000000027178: 0BEF2EFA FF00FFFD
	v_mul_f32_dpp v248, v254, v152 quad_perm:[0,0,0,0] row_mask:0xf bank_mask:0xf// 000000027180: 0BF130FA FF0000FE
	v_mul_f32_dpp v249, v254, v153 quad_perm:[1,1,1,1] row_mask:0xf bank_mask:0xf// 000000027188: 0BF332FA FF0055FE
	v_mul_f32_dpp v250, v254, v154 quad_perm:[2,2,2,2] row_mask:0xf bank_mask:0xf// 000000027190: 0BF534FA FF00AAFE
	v_mul_f32_dpp v251, v254, v155 quad_perm:[3,3,3,3] row_mask:0xf bank_mask:0xf// 000000027198: 0BF736FA FF00FFFE
	v_mul_f32_dpp v252, v255, v156 quad_perm:[0,0,0,0] row_mask:0xf bank_mask:0xf// 0000000271A0: 0BF938FA FF0000FF
	v_mul_f32_dpp v253, v255, v157 quad_perm:[1,1,1,1] row_mask:0xf bank_mask:0xf// 0000000271A8: 0BFB3AFA FF0055FF
	v_mul_f32_dpp v254, v255, v158 quad_perm:[2,2,2,2] row_mask:0xf bank_mask:0xf// 0000000271B0: 0BFD3CFA FF00AAFF
	v_mul_f32_dpp v255, v255, v159 quad_perm:[3,3,3,3] row_mask:0xf bank_mask:0xf// 0000000271B8: 0BFF3EFA FF00FFFF
	v_mov_b32_e32 v48, 0x358637bd                              // 0000000271C0: 7E6002FF 358637BD
	v_max3_f32 v48, |v240|, |v241|, v48                        // 0000000271C8: D1D30330 04C3E3F0
	v_max3_f32 v48, |v242|, |v243|, v48                        // 0000000271D0: D1D30330 04C3E7F2
	v_max3_f32 v48, |v244|, |v245|, v48                        // 0000000271D8: D1D30330 04C3EBF4
	v_max3_f32 v48, |v246|, |v247|, v48                        // 0000000271E0: D1D30330 04C3EFF6
	v_max3_f32 v48, |v248|, |v249|, v48                        // 0000000271E8: D1D30330 04C3F3F8
	v_max3_f32 v48, |v250|, |v251|, v48                        // 0000000271F0: D1D30330 04C3F7FA
	v_max3_f32 v48, |v252|, |v253|, v48                        // 0000000271F8: D1D30330 04C3FBFC
	v_max3_f32 v48, |v254|, |v255|, v48                        // 000000027200: D1D30330 04C3FFFE
	ds_write_b32 v8, v48 offset:20992                          // 000000027208: D81A5200 00003008
	v_sub_f32_e32 v51, v13, v15                                // 000000027210: 04661F0D
	v_cndmask_b32_e64 v51, v51, 0, s[40:41]                    // 000000027214: D1000033 00A10133
	v_mov_b32_e32 v13, v15                                     // 00000002721C: 7E1A030F
	v_mul_f32_e32 v51, s64, v51                                // 000000027220: 0A666640
	v_exp_f32_e32 v51, v51                                     // 000000027224: 7E664133
	s_waitcnt lgkmcnt(0)                                       // 000000027228: BF8CC07F
	s_barrier                                                  // 00000002722C: BF8A0000
	ds_read_b32 v64, v7 offset:20992                           // 000000027230: D86C5200 40000007
	ds_read_b32 v65, v7 offset:21056                           // 000000027238: D86C5240 41000007
	ds_read_b32 v66, v7 offset:21120                           // 000000027240: D86C5280 42000007
	ds_read_b32 v67, v7 offset:21184                           // 000000027248: D86C52C0 43000007
	ds_read_b32 v68, v7 offset:21248                           // 000000027250: D86C5300 44000007
	ds_read_b32 v69, v7 offset:21312                           // 000000027258: D86C5340 45000007
	ds_read_b32 v70, v7 offset:21376                           // 000000027260: D86C5380 46000007
	ds_read_b32 v71, v7 offset:21440                           // 000000027268: D86C53C0 47000007
	ds_read_b32 v72, v7 offset:21504                           // 000000027270: D86C5400 48000007
	ds_read_b32 v73, v7 offset:21568                           // 000000027278: D86C5440 49000007
	ds_read_b32 v74, v7 offset:21632                           // 000000027280: D86C5480 4A000007
	ds_read_b32 v75, v7 offset:21696                           // 000000027288: D86C54C0 4B000007
	ds_read_b32 v76, v7 offset:21760                           // 000000027290: D86C5500 4C000007
	ds_read_b32 v77, v7 offset:21824                           // 000000027298: D86C5540 4D000007
	ds_read_b32 v78, v7 offset:21888                           // 0000000272A0: D86C5580 4E000007
	ds_read_b32 v79, v7 offset:21952                           // 0000000272A8: D86C55C0 4F000007
	v_mul_f32_e32 v40, v51, v40                                // 0000000272B0: 0A505133
	v_mov_b32_e32 v15, v144                                    // 0000000272B4: 7E1E0390
	v_add_f32_e32 v15, v145, v15                               // 0000000272B8: 021E1F91
	v_add_f32_e32 v15, v146, v15                               // 0000000272BC: 021E1F92
	v_add_f32_e32 v15, v147, v15                               // 0000000272C0: 021E1F93
	v_add_f32_e32 v15, v148, v15                               // 0000000272C4: 021E1F94
	v_add_f32_e32 v15, v149, v15                               // 0000000272C8: 021E1F95
	v_add_f32_e32 v15, v150, v15                               // 0000000272CC: 021E1F96
	v_add_f32_e32 v15, v151, v15                               // 0000000272D0: 021E1F97
	v_add_f32_e32 v15, v152, v15                               // 0000000272D4: 021E1F98
	v_add_f32_e32 v15, v153, v15                               // 0000000272D8: 021E1F99
	v_add_f32_e32 v15, v154, v15                               // 0000000272DC: 021E1F9A
	v_add_f32_e32 v15, v155, v15                               // 0000000272E0: 021E1F9B
	v_add_f32_e32 v15, v156, v15                               // 0000000272E4: 021E1F9C
	v_add_f32_e32 v15, v157, v15                               // 0000000272E8: 021E1F9D
	v_add_f32_e32 v15, v158, v15                               // 0000000272EC: 021E1F9E
	v_add_f32_e32 v15, v159, v15                               // 0000000272F0: 021E1F9F
	v_add_f32_e32 v40, v15, v40                                // 0000000272F4: 0250510F
	s_waitcnt lgkmcnt(0)                                       // 0000000272F8: BF8CC07F
	v_max3_f32 v48, |v64|, |v65|, v48                          // 0000000272FC: D1D30330 04C28340
	v_max3_f32 v48, |v66|, |v67|, v48                          // 000000027304: D1D30330 04C28742
	v_max3_f32 v48, |v68|, |v69|, v48                          // 00000002730C: D1D30330 04C28B44
	v_max3_f32 v48, |v70|, |v71|, v48                          // 000000027314: D1D30330 04C28F46
	v_max3_f32 v48, |v72|, |v73|, v48                          // 00000002731C: D1D30330 04C29348
	v_max3_f32 v48, |v74|, |v75|, v48                          // 000000027324: D1D30330 04C2974A
	v_max3_f32 v48, |v76|, |v77|, v48                          // 00000002732C: D1D30330 04C29B4C
	v_max3_f32 v48, |v78|, |v79|, v48                          // 000000027334: D1D30330 04C29F4E
	s_nop 2                                                    // 00000002733C: BF800002
	v_rcp_f32_e32 v48, v48                                     // 000000027340: 7E604530
	s_nop 1                                                    // 000000027344: BF800001
	v_mul_f32_e32 v48, 0x43e00000, v48                         // 000000027348: 0A6060FF 43E00000
	v_mul_f32_e32 v144, v48, v240                              // 000000027350: 0B21E130
	v_mul_f32_e32 v145, v48, v241                              // 000000027354: 0B23E330
	v_mul_f32_e32 v146, v48, v242                              // 000000027358: 0B25E530
	v_mul_f32_e32 v147, v48, v243                              // 00000002735C: 0B27E730
	v_mul_f32_e32 v148, v48, v244                              // 000000027360: 0B29E930
	v_mul_f32_e32 v149, v48, v245                              // 000000027364: 0B2BEB30
	v_mul_f32_e32 v150, v48, v246                              // 000000027368: 0B2DED30
	v_mul_f32_e32 v151, v48, v247                              // 00000002736C: 0B2FEF30
	v_mul_f32_e32 v152, v48, v248                              // 000000027370: 0B31F130
	v_mul_f32_e32 v153, v48, v249                              // 000000027374: 0B33F330
	v_mul_f32_e32 v154, v48, v250                              // 000000027378: 0B35F530
	v_mul_f32_e32 v155, v48, v251                              // 00000002737C: 0B37F730
	v_mul_f32_e32 v156, v48, v252                              // 000000027380: 0B39F930
	v_mul_f32_e32 v157, v48, v253                              // 000000027384: 0B3BFB30
	v_mul_f32_e32 v158, v48, v254                              // 000000027388: 0B3DFD30
	v_mul_f32_e32 v159, v48, v255                              // 00000002738C: 0B3FFF30
	v_cvt_pk_fp8_f32 v144, v144, v145                          // 000000027390: D2A20090 00032390
	v_cvt_pk_fp8_f32 v144, v146, v147 op_sel:[0,0,1]           // 000000027398: D2A24090 00032792
	v_cvt_pk_fp8_f32 v145, v148, v149                          // 0000000273A0: D2A20091 00032B94
	v_cvt_pk_fp8_f32 v145, v150, v151 op_sel:[0,0,1]           // 0000000273A8: D2A24091 00032F96
	v_cvt_pk_fp8_f32 v146, v152, v153                          // 0000000273B0: D2A20092 00033398
	v_cvt_pk_fp8_f32 v146, v154, v155 op_sel:[0,0,1]           // 0000000273B8: D2A24092 0003379A
	v_cvt_pk_fp8_f32 v147, v156, v157                          // 0000000273C0: D2A20093 00033B9C
	v_cvt_pk_fp8_f32 v147, v158, v159 op_sel:[0,0,1]           // 0000000273C8: D2A24093 00033F9E
	ds_write_b32 v10, v144 offset:33280                        // 0000000273D0: D81A8200 0000900A
	ds_write_b32 v10, v145 offset:34304                        // 0000000273D8: D81A8600 0000910A
	ds_write_b32 v10, v146 offset:35328                        // 0000000273E0: D81A8A00 0000920A
	ds_write_b32 v10, v147 offset:36352                        // 0000000273E8: D81A8E00 0000930A
	v_add_f32_e32 v224, v224, v192                             // 0000000273F0: 03C181E0
	v_add_f32_e32 v225, v225, v193                             // 0000000273F4: 03C383E1
	v_add_f32_e32 v226, v226, v194                             // 0000000273F8: 03C585E2
	v_add_f32_e32 v227, v227, v195                             // 0000000273FC: 03C787E3
	v_add_f32_e32 v228, v228, v196                             // 000000027400: 03C989E4
	v_add_f32_e32 v229, v229, v197                             // 000000027404: 03CB8BE5
	v_add_f32_e32 v230, v230, v198                             // 000000027408: 03CD8DE6
	v_add_f32_e32 v231, v231, v199                             // 00000002740C: 03CF8FE7
	v_rcp_f32_e32 v46, v48                                     // 000000027410: 7E5C4530
	s_waitcnt lgkmcnt(0)                                       // 000000027414: BF8CC07F
	s_barrier                                                  // 000000027418: BF8A0000
	ds_read_b64 v[144:145], v9 offset:33280                    // 00000002741C: D8EC8200 90000009
	ds_read_b64 v[146:147], v9 offset:33408                    // 000000027424: D8EC8280 92000009
	ds_read_b64 v[148:149], v9 offset:34304                    // 00000002742C: D8EC8600 94000009
	ds_read_b64 v[150:151], v9 offset:34432                    // 000000027434: D8EC8680 96000009
	ds_read_b64 v[152:153], v9 offset:35328                    // 00000002743C: D8EC8A00 98000009
	ds_read_b64 v[154:155], v9 offset:35456                    // 000000027444: D8EC8A80 9A000009
	ds_read_b64 v[156:157], v9 offset:36352                    // 00000002744C: D8EC8E00 9C000009
	ds_read_b64 v[158:159], v9 offset:36480                    // 000000027454: D8EC8E80 9E000009
	v_mov_b32_dpp v64, v43 row_shr:4 row_mask:0xf bank_mask:0xf// 00000002745C: 7E8002FA FF01142B
	v_mov_b32_dpp v65, v43 row_shl:4 row_mask:0xf bank_mask:0xf// 000000027464: 7E8202FA FF01042B
	v_cndmask_b32_e64 v248, v43, v64, s[44:45]                 // 00000002746C: D10000F8 00B2812B
	v_cndmask_b32_e64 v249, v65, v43, s[44:45]                 // 000000027474: D10000F9 00B25741
	v_mov_b32_dpp v64, v248 row_shr:8 row_mask:0xf bank_mask:0xf// 00000002747C: 7E8002FA FF0118F8
	v_mov_b32_dpp v65, v248 row_shl:8 row_mask:0xf bank_mask:0xf// 000000027484: 7E8202FA FF0108F8
	v_mov_b32_dpp v66, v249 row_shr:8 row_mask:0xf bank_mask:0xf// 00000002748C: 7E8402FA FF0118F9
	v_mov_b32_dpp v67, v249 row_shl:8 row_mask:0xf bank_mask:0xf// 000000027494: 7E8602FA FF0108F9
	v_mov_b32_e32 v68, v248                                    // 00000002749C: 7E8803F8
	v_mov_b32_e32 v69, v249                                    // 0000000274A0: 7E8A03F9
	v_cndmask_b32_e64 v248, v68, v64, s[42:43]                 // 0000000274A4: D10000F8 00AA8144
	v_cndmask_b32_e64 v250, v68, v65, s[78:79]                 // 0000000274AC: D10000FA 013A8344
	v_cndmask_b32_e64 v249, v69, v66, s[42:43]                 // 0000000274B4: D10000F9 00AA8545
	v_cndmask_b32_e64 v251, v69, v67, s[78:79]                 // 0000000274BC: D10000FB 013A8745
	v_mov_b32_dpp v64, v58 row_shr:4 row_mask:0xf bank_mask:0xf// 0000000274C4: 7E8002FA FF01143A
	v_mov_b32_dpp v65, v58 row_shl:4 row_mask:0xf bank_mask:0xf// 0000000274CC: 7E8202FA FF01043A
	v_cndmask_b32_e64 v252, v58, v64, s[44:45]                 // 0000000274D4: D10000FC 00B2813A
	v_cndmask_b32_e64 v253, v65, v58, s[44:45]                 // 0000000274DC: D10000FD 00B27541
	v_mov_b32_dpp v64, v252 row_shr:8 row_mask:0xf bank_mask:0xf// 0000000274E4: 7E8002FA FF0118FC
	v_mov_b32_dpp v65, v252 row_shl:8 row_mask:0xf bank_mask:0xf// 0000000274EC: 7E8202FA FF0108FC
	v_mov_b32_dpp v66, v253 row_shr:8 row_mask:0xf bank_mask:0xf// 0000000274F4: 7E8402FA FF0118FD
	v_mov_b32_dpp v67, v253 row_shl:8 row_mask:0xf bank_mask:0xf// 0000000274FC: 7E8602FA FF0108FD
	v_mov_b32_e32 v68, v252                                    // 000000027504: 7E8803FC
	v_mov_b32_e32 v69, v253                                    // 000000027508: 7E8A03FD
	v_cndmask_b32_e64 v252, v68, v64, s[42:43]                 // 00000002750C: D10000FC 00AA8144
	v_cndmask_b32_e64 v254, v68, v65, s[78:79]                 // 000000027514: D10000FE 013A8344
	v_cndmask_b32_e64 v253, v69, v66, s[42:43]                 // 00000002751C: D10000FD 00AA8545
	v_cndmask_b32_e64 v255, v69, v67, s[78:79]                 // 000000027524: D10000FF 013A8745
	v_mul_f32_e32 v160, v21, v160                              // 00000002752C: 0B414115
	v_mul_f32_e32 v161, v21, v161                              // 000000027530: 0B434315
	v_mul_f32_e32 v162, v21, v162                              // 000000027534: 0B454515
	v_mul_f32_e32 v163, v21, v163                              // 000000027538: 0B474715
	v_mul_f32_e32 v164, v21, v164                              // 00000002753C: 0B494915
	v_mul_f32_e32 v165, v21, v165                              // 000000027540: 0B4B4B15
	v_mul_f32_e32 v166, v21, v166                              // 000000027544: 0B4D4D15
	v_mul_f32_e32 v167, v21, v167                              // 000000027548: 0B4F4F15
	v_mul_f32_e32 v168, v21, v168                              // 00000002754C: 0B515115
	v_mul_f32_e32 v169, v21, v169                              // 000000027550: 0B535315
	v_mul_f32_e32 v170, v21, v170                              // 000000027554: 0B555515
	v_mul_f32_e32 v171, v21, v171                              // 000000027558: 0B575715
	v_mul_f32_e32 v172, v21, v172                              // 00000002755C: 0B595915
	v_mul_f32_e32 v173, v21, v173                              // 000000027560: 0B5B5B15
	v_mul_f32_e32 v174, v21, v174                              // 000000027564: 0B5D5D15
	v_mul_f32_e32 v175, v21, v175                              // 000000027568: 0B5F5F15
	v_mul_f32_dpp v160, v248, v160 quad_perm:[0,0,0,0] row_mask:0xf bank_mask:0xf// 00000002756C: 0B4140FA FF0000F8
	v_mul_f32_dpp v161, v248, v161 quad_perm:[1,1,1,1] row_mask:0xf bank_mask:0xf// 000000027574: 0B4342FA FF0055F8
	v_mul_f32_dpp v162, v248, v162 quad_perm:[2,2,2,2] row_mask:0xf bank_mask:0xf// 00000002757C: 0B4544FA FF00AAF8
	v_mul_f32_dpp v163, v248, v163 quad_perm:[3,3,3,3] row_mask:0xf bank_mask:0xf// 000000027584: 0B4746FA FF00FFF8
	v_mul_f32_dpp v164, v249, v164 quad_perm:[0,0,0,0] row_mask:0xf bank_mask:0xf// 00000002758C: 0B4948FA FF0000F9
	v_mul_f32_dpp v165, v249, v165 quad_perm:[1,1,1,1] row_mask:0xf bank_mask:0xf// 000000027594: 0B4B4AFA FF0055F9
	v_mul_f32_dpp v166, v249, v166 quad_perm:[2,2,2,2] row_mask:0xf bank_mask:0xf// 00000002759C: 0B4D4CFA FF00AAF9
	v_mul_f32_dpp v167, v249, v167 quad_perm:[3,3,3,3] row_mask:0xf bank_mask:0xf// 0000000275A4: 0B4F4EFA FF00FFF9
	v_mul_f32_dpp v168, v250, v168 quad_perm:[0,0,0,0] row_mask:0xf bank_mask:0xf// 0000000275AC: 0B5150FA FF0000FA
	v_mul_f32_dpp v169, v250, v169 quad_perm:[1,1,1,1] row_mask:0xf bank_mask:0xf// 0000000275B4: 0B5352FA FF0055FA
	v_mul_f32_dpp v170, v250, v170 quad_perm:[2,2,2,2] row_mask:0xf bank_mask:0xf// 0000000275BC: 0B5554FA FF00AAFA
	v_mul_f32_dpp v171, v250, v171 quad_perm:[3,3,3,3] row_mask:0xf bank_mask:0xf// 0000000275C4: 0B5756FA FF00FFFA
	v_mul_f32_dpp v172, v251, v172 quad_perm:[0,0,0,0] row_mask:0xf bank_mask:0xf// 0000000275CC: 0B5958FA FF0000FB
	v_mul_f32_dpp v173, v251, v173 quad_perm:[1,1,1,1] row_mask:0xf bank_mask:0xf// 0000000275D4: 0B5B5AFA FF0055FB
	v_mul_f32_dpp v174, v251, v174 quad_perm:[2,2,2,2] row_mask:0xf bank_mask:0xf// 0000000275DC: 0B5D5CFA FF00AAFB
	v_mul_f32_dpp v175, v251, v175 quad_perm:[3,3,3,3] row_mask:0xf bank_mask:0xf// 0000000275E4: 0B5F5EFA FF00FFFB
	s_cmp_le_i32 s90, s89                                      // 0000000275EC: BF05595A
	s_cbranch_scc1 label_956E                                  // 0000000275F0: BF850071
	v_mov_b32_e32 v66, 0xff800000                              // 0000000275F4: 7E8402FF FF800000
	s_mov_b32 s60, s90                                         // 0000000275FC: BEBC005A
	s_add_u32 s61, s89, 0xff                                   // 000000027600: 803DFF59 000000FF
	v_mov_b32_e32 v64, s61                                     // 000000027608: 7E80023D
	v_lshrrev_b32_e32 v240, 4, v0                              // 00000002760C: 21E00084
	v_mul_i32_i24_e32 v240, 4, v240                            // 000000027610: 0DE1E084
	v_add_u32_e32 v240, s60, v240                              // 000000027614: 69E1E03C
	s_mov_b32 s61, 3                                           // 000000027618: BEBD0083
	s_mul_i32 s60, 16, s7                                      // 00000002761C: 923C0790
	v_sub_u32_e64 v240, v240, s61                              // 000000027620: D13500F0 00007BF0
	v_add_u32_e32 v240, s60, v240                              // 000000027628: 69E1E03C
	v_add_u32_e32 v241, 1, v240                                // 00000002762C: 69E3E081
	v_add_u32_e32 v242, 2, v240                                // 000000027630: 69E5E082
	v_add_u32_e32 v243, 3, v240                                // 000000027634: 69E7E083
	v_cmp_le_u32_e64 s[40:41], v240, v64                       // 000000027638: D0CB0028 000281F0
	v_add_u32_e32 v240, 64, v240                               // 000000027640: 69E1E0C0
	s_nop 0                                                    // 000000027644: BF800000
	v_cndmask_b32_e64 v160, v66, v160, s[40:41]                // 000000027648: D10000A0 00A34142
	v_cmp_le_u32_e64 s[40:41], v241, v64                       // 000000027650: D0CB0028 000281F1
	v_add_u32_e32 v241, 64, v241                               // 000000027658: 69E3E2C0
	s_nop 0                                                    // 00000002765C: BF800000
	v_cndmask_b32_e64 v161, v66, v161, s[40:41]                // 000000027660: D10000A1 00A34342
	v_cmp_le_u32_e64 s[40:41], v242, v64                       // 000000027668: D0CB0028 000281F2
	v_add_u32_e32 v242, 64, v242                               // 000000027670: 69E5E4C0
	s_nop 0                                                    // 000000027674: BF800000
	v_cndmask_b32_e64 v162, v66, v162, s[40:41]                // 000000027678: D10000A2 00A34542
	v_cmp_le_u32_e64 s[40:41], v243, v64                       // 000000027680: D0CB0028 000281F3
	v_add_u32_e32 v243, 64, v243                               // 000000027688: 69E7E6C0
	s_nop 0                                                    // 00000002768C: BF800000
	v_cndmask_b32_e64 v163, v66, v163, s[40:41]                // 000000027690: D10000A3 00A34742
	v_cmp_le_u32_e64 s[40:41], v240, v64                       // 000000027698: D0CB0028 000281F0
	v_add_u32_e32 v240, 64, v240                               // 0000000276A0: 69E1E0C0
	s_nop 0                                                    // 0000000276A4: BF800000
	v_cndmask_b32_e64 v164, v66, v164, s[40:41]                // 0000000276A8: D10000A4 00A34942
	v_cmp_le_u32_e64 s[40:41], v241, v64                       // 0000000276B0: D0CB0028 000281F1
	v_add_u32_e32 v241, 64, v241                               // 0000000276B8: 69E3E2C0
	s_nop 0                                                    // 0000000276BC: BF800000
	v_cndmask_b32_e64 v165, v66, v165, s[40:41]                // 0000000276C0: D10000A5 00A34B42
	v_cmp_le_u32_e64 s[40:41], v242, v64                       // 0000000276C8: D0CB0028 000281F2
	v_add_u32_e32 v242, 64, v242                               // 0000000276D0: 69E5E4C0
	s_nop 0                                                    // 0000000276D4: BF800000
	v_cndmask_b32_e64 v166, v66, v166, s[40:41]                // 0000000276D8: D10000A6 00A34D42
	v_cmp_le_u32_e64 s[40:41], v243, v64                       // 0000000276E0: D0CB0028 000281F3
	v_add_u32_e32 v243, 64, v243                               // 0000000276E8: 69E7E6C0
	s_nop 0                                                    // 0000000276EC: BF800000
	v_cndmask_b32_e64 v167, v66, v167, s[40:41]                // 0000000276F0: D10000A7 00A34F42
	v_cmp_le_u32_e64 s[40:41], v240, v64                       // 0000000276F8: D0CB0028 000281F0
	v_add_u32_e32 v240, 64, v240                               // 000000027700: 69E1E0C0
	s_nop 0                                                    // 000000027704: BF800000
	v_cndmask_b32_e64 v168, v66, v168, s[40:41]                // 000000027708: D10000A8 00A35142
	v_cmp_le_u32_e64 s[40:41], v241, v64                       // 000000027710: D0CB0028 000281F1
	v_add_u32_e32 v241, 64, v241                               // 000000027718: 69E3E2C0
	s_nop 0                                                    // 00000002771C: BF800000
	v_cndmask_b32_e64 v169, v66, v169, s[40:41]                // 000000027720: D10000A9 00A35342
	v_cmp_le_u32_e64 s[40:41], v242, v64                       // 000000027728: D0CB0028 000281F2
	v_add_u32_e32 v242, 64, v242                               // 000000027730: 69E5E4C0
	s_nop 0                                                    // 000000027734: BF800000
	v_cndmask_b32_e64 v170, v66, v170, s[40:41]                // 000000027738: D10000AA 00A35542
	v_cmp_le_u32_e64 s[40:41], v243, v64                       // 000000027740: D0CB0028 000281F3
	v_add_u32_e32 v243, 64, v243                               // 000000027748: 69E7E6C0
	s_nop 0                                                    // 00000002774C: BF800000
	v_cndmask_b32_e64 v171, v66, v171, s[40:41]                // 000000027750: D10000AB 00A35742
	v_cmp_le_u32_e64 s[40:41], v240, v64                       // 000000027758: D0CB0028 000281F0
	v_add_u32_e32 v240, 64, v240                               // 000000027760: 69E1E0C0
	s_nop 0                                                    // 000000027764: BF800000
	v_cndmask_b32_e64 v172, v66, v172, s[40:41]                // 000000027768: D10000AC 00A35942
	v_cmp_le_u32_e64 s[40:41], v241, v64                       // 000000027770: D0CB0028 000281F1
	v_add_u32_e32 v241, 64, v241                               // 000000027778: 69E3E2C0
	s_nop 0                                                    // 00000002777C: BF800000
	v_cndmask_b32_e64 v173, v66, v173, s[40:41]                // 000000027780: D10000AD 00A35B42
	v_cmp_le_u32_e64 s[40:41], v242, v64                       // 000000027788: D0CB0028 000281F2
	v_add_u32_e32 v242, 64, v242                               // 000000027790: 69E5E4C0
	s_nop 0                                                    // 000000027794: BF800000
	v_cndmask_b32_e64 v174, v66, v174, s[40:41]                // 000000027798: D10000AE 00A35D42
	v_cmp_le_u32_e64 s[40:41], v243, v64                       // 0000000277A0: D0CB0028 000281F3
	v_add_u32_e32 v243, 64, v243                               // 0000000277A8: 69E7E6C0
	s_nop 0                                                    // 0000000277AC: BF800000
	v_cndmask_b32_e64 v175, v66, v175, s[40:41]                // 0000000277B0: D10000AF 00A35F42

00000000000277b8 <label_956E>:
	s_add_u32 s90, s91, s90                                    // 0000000277B8: 805A5A5B
	v_mov_b32_e32 v48, v160                                    // 0000000277BC: 7E6003A0
	v_max3_f32 v48, v160, v161, v48                            // 0000000277C0: D1D30030 04C343A0
	v_max3_f32 v48, v162, v163, v48                            // 0000000277C8: D1D30030 04C347A2
	v_max3_f32 v48, v164, v165, v48                            // 0000000277D0: D1D30030 04C34BA4
	v_max3_f32 v48, v166, v167, v48                            // 0000000277D8: D1D30030 04C34FA6
	v_max3_f32 v48, v168, v169, v48                            // 0000000277E0: D1D30030 04C353A8
	v_max3_f32 v48, v170, v171, v48                            // 0000000277E8: D1D30030 04C357AA
	v_max3_f32 v48, v172, v173, v48                            // 0000000277F0: D1D30030 04C35BAC
	v_max3_f32 v48, v174, v175, v48                            // 0000000277F8: D1D30030 04C35FAE
	ds_write_b32 v8, v48 offset:16896                          // 000000027800: D81A4200 00003008
	v_mul_f32_e32 v232, v52, v232                              // 000000027808: 0BD1D134
	v_mul_f32_e32 v233, v52, v233                              // 00000002780C: 0BD3D334
	v_mul_f32_e32 v234, v52, v234                              // 000000027810: 0BD5D534
	v_mul_f32_e32 v235, v52, v235                              // 000000027814: 0BD7D734
	v_mul_f32_e32 v236, v52, v236                              // 000000027818: 0BD9D934
	v_mul_f32_e32 v237, v52, v237                              // 00000002781C: 0BDBDB34
	v_mul_f32_e32 v238, v52, v238                              // 000000027820: 0BDDDD34
	v_mul_f32_e32 v239, v52, v239                              // 000000027824: 0BDFDF34
	s_waitcnt lgkmcnt(0)                                       // 000000027828: BF8CC07F
	s_barrier                                                  // 00000002782C: BF8A0000
	ds_read_b32 v64, v7 offset:16896                           // 000000027830: D86C4200 40000007
	ds_read_b32 v65, v7 offset:16960                           // 000000027838: D86C4240 41000007
	ds_read_b32 v66, v7 offset:17024                           // 000000027840: D86C4280 42000007
	ds_read_b32 v67, v7 offset:17088                           // 000000027848: D86C42C0 43000007
	ds_read_b32 v68, v7 offset:17152                           // 000000027850: D86C4300 44000007
	ds_read_b32 v69, v7 offset:17216                           // 000000027858: D86C4340 45000007
	ds_read_b32 v70, v7 offset:17280                           // 000000027860: D86C4380 46000007
	ds_read_b32 v71, v7 offset:17344                           // 000000027868: D86C43C0 47000007
	ds_read_b32 v72, v7 offset:17408                           // 000000027870: D86C4400 48000007
	ds_read_b32 v73, v7 offset:17472                           // 000000027878: D86C4440 49000007
	ds_read_b32 v74, v7 offset:17536                           // 000000027880: D86C4480 4A000007
	ds_read_b32 v75, v7 offset:17600                           // 000000027888: D86C44C0 4B000007
	ds_read_b32 v76, v7 offset:17664                           // 000000027890: D86C4500 4C000007
	ds_read_b32 v77, v7 offset:17728                           // 000000027898: D86C4540 4D000007
	ds_read_b32 v78, v7 offset:17792                           // 0000000278A0: D86C4580 4E000007
	ds_read_b32 v79, v7 offset:17856                           // 0000000278A8: D86C45C0 4F000007
	v_mul_f32_e32 v200, v47, v200                              // 0000000278B0: 0B91912F
	v_mul_f32_e32 v201, v47, v201                              // 0000000278B4: 0B93932F
	v_mul_f32_e32 v202, v47, v202                              // 0000000278B8: 0B95952F
	v_mul_f32_e32 v203, v47, v203                              // 0000000278BC: 0B97972F
	v_mul_f32_e32 v204, v47, v204                              // 0000000278C0: 0B99992F
	v_mul_f32_e32 v205, v47, v205                              // 0000000278C4: 0B9B9B2F
	v_mul_f32_e32 v206, v47, v206                              // 0000000278C8: 0B9D9D2F
	v_mul_f32_e32 v207, v47, v207                              // 0000000278CC: 0B9F9F2F
	s_waitcnt lgkmcnt(0)                                       // 0000000278D0: BF8CC07F
	v_max3_f32 v48, v64, v65, v48                              // 0000000278D4: D1D30030 04C28340
	v_max3_f32 v48, v66, v67, v48                              // 0000000278DC: D1D30030 04C28742
	v_max3_f32 v48, v68, v69, v48                              // 0000000278E4: D1D30030 04C28B44
	v_max3_f32 v48, v70, v71, v48                              // 0000000278EC: D1D30030 04C28F46
	v_max3_f32 v48, v72, v73, v48                              // 0000000278F4: D1D30030 04C29348
	v_max3_f32 v48, v74, v75, v48                              // 0000000278FC: D1D30030 04C2974A
	v_max3_f32 v48, v76, v77, v48                              // 000000027904: D1D30030 04C29B4C
	v_max3_f32 v48, v78, v79, v48                              // 00000002790C: D1D30030 04C29F4E
	v_mov_b32_e32 v64, 0xff800000                              // 000000027914: 7E8002FF FF800000
	v_cmp_eq_u32_e64 s[40:41], v64, v14                        // 00000002791C: D0CA0028 00021D40
	s_nop 1                                                    // 000000027924: BF800001
	v_max_f32_e32 v15, v48, v14                                // 000000027928: 161E1D30
	v_mul_f32_e32 v53, s64, v15                                // 00000002792C: 0A6A1E40
	v_fma_f32 v160, v160, s64, -v53                            // 000000027930: D1CB00A0 84D481A0
	v_fma_f32 v161, v161, s64, -v53                            // 000000027938: D1CB00A1 84D481A1
	v_fma_f32 v162, v162, s64, -v53                            // 000000027940: D1CB00A2 84D481A2
	v_fma_f32 v163, v163, s64, -v53                            // 000000027948: D1CB00A3 84D481A3
	v_fma_f32 v164, v164, s64, -v53                            // 000000027950: D1CB00A4 84D481A4
	v_fma_f32 v165, v165, s64, -v53                            // 000000027958: D1CB00A5 84D481A5
	v_fma_f32 v166, v166, s64, -v53                            // 000000027960: D1CB00A6 84D481A6
	v_fma_f32 v167, v167, s64, -v53                            // 000000027968: D1CB00A7 84D481A7
	v_fma_f32 v168, v168, s64, -v53                            // 000000027970: D1CB00A8 84D481A8
	v_fma_f32 v169, v169, s64, -v53                            // 000000027978: D1CB00A9 84D481A9
	v_fma_f32 v170, v170, s64, -v53                            // 000000027980: D1CB00AA 84D481AA
	v_fma_f32 v171, v171, s64, -v53                            // 000000027988: D1CB00AB 84D481AB
	v_fma_f32 v172, v172, s64, -v53                            // 000000027990: D1CB00AC 84D481AC
	v_fma_f32 v173, v173, s64, -v53                            // 000000027998: D1CB00AD 84D481AD
	v_fma_f32 v174, v174, s64, -v53                            // 0000000279A0: D1CB00AE 84D481AE
	v_fma_f32 v175, v175, s64, -v53                            // 0000000279A8: D1CB00AF 84D481AF
	v_exp_f32_e32 v160, v160                                   // 0000000279B0: 7F4041A0
	v_exp_f32_e32 v161, v161                                   // 0000000279B4: 7F4241A1
	v_exp_f32_e32 v162, v162                                   // 0000000279B8: 7F4441A2
	v_exp_f32_e32 v163, v163                                   // 0000000279BC: 7F4641A3
	v_exp_f32_e32 v164, v164                                   // 0000000279C0: 7F4841A4
	v_exp_f32_e32 v165, v165                                   // 0000000279C4: 7F4A41A5
	v_exp_f32_e32 v166, v166                                   // 0000000279C8: 7F4C41A6
	v_exp_f32_e32 v167, v167                                   // 0000000279CC: 7F4E41A7
	v_exp_f32_e32 v168, v168                                   // 0000000279D0: 7F5041A8
	v_exp_f32_e32 v169, v169                                   // 0000000279D4: 7F5241A9
	v_exp_f32_e32 v170, v170                                   // 0000000279D8: 7F5441AA
	v_exp_f32_e32 v171, v171                                   // 0000000279DC: 7F5641AB
	v_exp_f32_e32 v172, v172                                   // 0000000279E0: 7F5841AC
	v_exp_f32_e32 v173, v173                                   // 0000000279E4: 7F5A41AD
	v_exp_f32_e32 v174, v174                                   // 0000000279E8: 7F5C41AE
	v_exp_f32_e32 v175, v175                                   // 0000000279EC: 7F5E41AF
	v_mul_f32_dpp v240, v252, v160 quad_perm:[0,0,0,0] row_mask:0xf bank_mask:0xf// 0000000279F0: 0BE140FA FF0000FC
	v_mul_f32_dpp v241, v252, v161 quad_perm:[1,1,1,1] row_mask:0xf bank_mask:0xf// 0000000279F8: 0BE342FA FF0055FC
	v_mul_f32_dpp v242, v252, v162 quad_perm:[2,2,2,2] row_mask:0xf bank_mask:0xf// 000000027A00: 0BE544FA FF00AAFC
	v_mul_f32_dpp v243, v252, v163 quad_perm:[3,3,3,3] row_mask:0xf bank_mask:0xf// 000000027A08: 0BE746FA FF00FFFC
	v_mul_f32_dpp v244, v253, v164 quad_perm:[0,0,0,0] row_mask:0xf bank_mask:0xf// 000000027A10: 0BE948FA FF0000FD
	v_mul_f32_dpp v245, v253, v165 quad_perm:[1,1,1,1] row_mask:0xf bank_mask:0xf// 000000027A18: 0BEB4AFA FF0055FD
	v_mul_f32_dpp v246, v253, v166 quad_perm:[2,2,2,2] row_mask:0xf bank_mask:0xf// 000000027A20: 0BED4CFA FF00AAFD
	v_mul_f32_dpp v247, v253, v167 quad_perm:[3,3,3,3] row_mask:0xf bank_mask:0xf// 000000027A28: 0BEF4EFA FF00FFFD
	v_mul_f32_dpp v248, v254, v168 quad_perm:[0,0,0,0] row_mask:0xf bank_mask:0xf// 000000027A30: 0BF150FA FF0000FE
	v_mul_f32_dpp v249, v254, v169 quad_perm:[1,1,1,1] row_mask:0xf bank_mask:0xf// 000000027A38: 0BF352FA FF0055FE
	v_mul_f32_dpp v250, v254, v170 quad_perm:[2,2,2,2] row_mask:0xf bank_mask:0xf// 000000027A40: 0BF554FA FF00AAFE
	v_mul_f32_dpp v251, v254, v171 quad_perm:[3,3,3,3] row_mask:0xf bank_mask:0xf// 000000027A48: 0BF756FA FF00FFFE
	v_mul_f32_dpp v252, v255, v172 quad_perm:[0,0,0,0] row_mask:0xf bank_mask:0xf// 000000027A50: 0BF958FA FF0000FF
	v_mul_f32_dpp v253, v255, v173 quad_perm:[1,1,1,1] row_mask:0xf bank_mask:0xf// 000000027A58: 0BFB5AFA FF0055FF
	v_mul_f32_dpp v254, v255, v174 quad_perm:[2,2,2,2] row_mask:0xf bank_mask:0xf// 000000027A60: 0BFD5CFA FF00AAFF
	v_mul_f32_dpp v255, v255, v175 quad_perm:[3,3,3,3] row_mask:0xf bank_mask:0xf// 000000027A68: 0BFF5EFA FF00FFFF
	v_mov_b32_e32 v48, 0x358637bd                              // 000000027A70: 7E6002FF 358637BD
	v_max3_f32 v48, |v240|, |v241|, v48                        // 000000027A78: D1D30330 04C3E3F0
	v_max3_f32 v48, |v242|, |v243|, v48                        // 000000027A80: D1D30330 04C3E7F2
	v_max3_f32 v48, |v244|, |v245|, v48                        // 000000027A88: D1D30330 04C3EBF4
	v_max3_f32 v48, |v246|, |v247|, v48                        // 000000027A90: D1D30330 04C3EFF6
	v_max3_f32 v48, |v248|, |v249|, v48                        // 000000027A98: D1D30330 04C3F3F8
	v_max3_f32 v48, |v250|, |v251|, v48                        // 000000027AA0: D1D30330 04C3F7FA
	v_max3_f32 v48, |v252|, |v253|, v48                        // 000000027AA8: D1D30330 04C3FBFC
	v_max3_f32 v48, |v254|, |v255|, v48                        // 000000027AB0: D1D30330 04C3FFFE
	ds_write_b32 v8, v48 offset:20992                          // 000000027AB8: D81A5200 00003008
	v_sub_f32_e32 v52, v14, v15                                // 000000027AC0: 04681F0E
	v_cndmask_b32_e64 v52, v52, 0, s[40:41]                    // 000000027AC4: D1000034 00A10134
	v_mov_b32_e32 v14, v15                                     // 000000027ACC: 7E1C030F
	v_mul_f32_e32 v52, s64, v52                                // 000000027AD0: 0A686840
	v_exp_f32_e32 v52, v52                                     // 000000027AD4: 7E684134
	s_waitcnt lgkmcnt(0)                                       // 000000027AD8: BF8CC07F
	s_barrier                                                  // 000000027ADC: BF8A0000
	ds_read_b32 v64, v7 offset:20992                           // 000000027AE0: D86C5200 40000007
	ds_read_b32 v65, v7 offset:21056                           // 000000027AE8: D86C5240 41000007
	ds_read_b32 v66, v7 offset:21120                           // 000000027AF0: D86C5280 42000007
	ds_read_b32 v67, v7 offset:21184                           // 000000027AF8: D86C52C0 43000007
	ds_read_b32 v68, v7 offset:21248                           // 000000027B00: D86C5300 44000007
	ds_read_b32 v69, v7 offset:21312                           // 000000027B08: D86C5340 45000007
	ds_read_b32 v70, v7 offset:21376                           // 000000027B10: D86C5380 46000007
	ds_read_b32 v71, v7 offset:21440                           // 000000027B18: D86C53C0 47000007
	ds_read_b32 v72, v7 offset:21504                           // 000000027B20: D86C5400 48000007
	ds_read_b32 v73, v7 offset:21568                           // 000000027B28: D86C5440 49000007
	ds_read_b32 v74, v7 offset:21632                           // 000000027B30: D86C5480 4A000007
	ds_read_b32 v75, v7 offset:21696                           // 000000027B38: D86C54C0 4B000007
	ds_read_b32 v76, v7 offset:21760                           // 000000027B40: D86C5500 4C000007
	ds_read_b32 v77, v7 offset:21824                           // 000000027B48: D86C5540 4D000007
	ds_read_b32 v78, v7 offset:21888                           // 000000027B50: D86C5580 4E000007
	ds_read_b32 v79, v7 offset:21952                           // 000000027B58: D86C55C0 4F000007
	v_mul_f32_e32 v41, v52, v41                                // 000000027B60: 0A525334
	v_mov_b32_e32 v15, v160                                    // 000000027B64: 7E1E03A0
	v_add_f32_e32 v15, v161, v15                               // 000000027B68: 021E1FA1
	v_add_f32_e32 v15, v162, v15                               // 000000027B6C: 021E1FA2
	v_add_f32_e32 v15, v163, v15                               // 000000027B70: 021E1FA3
	v_add_f32_e32 v15, v164, v15                               // 000000027B74: 021E1FA4
	v_add_f32_e32 v15, v165, v15                               // 000000027B78: 021E1FA5
	v_add_f32_e32 v15, v166, v15                               // 000000027B7C: 021E1FA6
	v_add_f32_e32 v15, v167, v15                               // 000000027B80: 021E1FA7
	v_add_f32_e32 v15, v168, v15                               // 000000027B84: 021E1FA8
	v_add_f32_e32 v15, v169, v15                               // 000000027B88: 021E1FA9
	v_add_f32_e32 v15, v170, v15                               // 000000027B8C: 021E1FAA
	v_add_f32_e32 v15, v171, v15                               // 000000027B90: 021E1FAB
	v_add_f32_e32 v15, v172, v15                               // 000000027B94: 021E1FAC
	v_add_f32_e32 v15, v173, v15                               // 000000027B98: 021E1FAD
	v_add_f32_e32 v15, v174, v15                               // 000000027B9C: 021E1FAE
	v_add_f32_e32 v15, v175, v15                               // 000000027BA0: 021E1FAF
	v_add_f32_e32 v41, v15, v41                                // 000000027BA4: 0252530F
	s_waitcnt lgkmcnt(0)                                       // 000000027BA8: BF8CC07F
	v_max3_f32 v48, |v64|, |v65|, v48                          // 000000027BAC: D1D30330 04C28340
	v_max3_f32 v48, |v66|, |v67|, v48                          // 000000027BB4: D1D30330 04C28742
	v_max3_f32 v48, |v68|, |v69|, v48                          // 000000027BBC: D1D30330 04C28B44
	v_max3_f32 v48, |v70|, |v71|, v48                          // 000000027BC4: D1D30330 04C28F46
	v_max3_f32 v48, |v72|, |v73|, v48                          // 000000027BCC: D1D30330 04C29348
	v_max3_f32 v48, |v74|, |v75|, v48                          // 000000027BD4: D1D30330 04C2974A
	v_max3_f32 v48, |v76|, |v77|, v48                          // 000000027BDC: D1D30330 04C29B4C
	v_max3_f32 v48, |v78|, |v79|, v48                          // 000000027BE4: D1D30330 04C29F4E
	s_nop 2                                                    // 000000027BEC: BF800002
	v_rcp_f32_e32 v48, v48                                     // 000000027BF0: 7E604530
	s_nop 1                                                    // 000000027BF4: BF800001
	v_mul_f32_e32 v48, 0x43e00000, v48                         // 000000027BF8: 0A6060FF 43E00000
	v_mul_f32_e32 v160, v48, v240                              // 000000027C00: 0B41E130
	v_mul_f32_e32 v161, v48, v241                              // 000000027C04: 0B43E330
	v_mul_f32_e32 v162, v48, v242                              // 000000027C08: 0B45E530
	v_mul_f32_e32 v163, v48, v243                              // 000000027C0C: 0B47E730
	v_mul_f32_e32 v164, v48, v244                              // 000000027C10: 0B49E930
	v_mul_f32_e32 v165, v48, v245                              // 000000027C14: 0B4BEB30
	v_mul_f32_e32 v166, v48, v246                              // 000000027C18: 0B4DED30
	v_mul_f32_e32 v167, v48, v247                              // 000000027C1C: 0B4FEF30
	v_mul_f32_e32 v168, v48, v248                              // 000000027C20: 0B51F130
	v_mul_f32_e32 v169, v48, v249                              // 000000027C24: 0B53F330
	v_mul_f32_e32 v170, v48, v250                              // 000000027C28: 0B55F530
	v_mul_f32_e32 v171, v48, v251                              // 000000027C2C: 0B57F730
	v_mul_f32_e32 v172, v48, v252                              // 000000027C30: 0B59F930
	v_mul_f32_e32 v173, v48, v253                              // 000000027C34: 0B5BFB30
	v_mul_f32_e32 v174, v48, v254                              // 000000027C38: 0B5DFD30
	v_mul_f32_e32 v175, v48, v255                              // 000000027C3C: 0B5FFF30
	v_cvt_pk_fp8_f32 v160, v160, v161                          // 000000027C40: D2A200A0 000343A0
	v_cvt_pk_fp8_f32 v160, v162, v163 op_sel:[0,0,1]           // 000000027C48: D2A240A0 000347A2
	v_cvt_pk_fp8_f32 v161, v164, v165                          // 000000027C50: D2A200A1 00034BA4
	v_cvt_pk_fp8_f32 v161, v166, v167 op_sel:[0,0,1]           // 000000027C58: D2A240A1 00034FA6
	v_cvt_pk_fp8_f32 v162, v168, v169                          // 000000027C60: D2A200A2 000353A8
	v_cvt_pk_fp8_f32 v162, v170, v171 op_sel:[0,0,1]           // 000000027C68: D2A240A2 000357AA
	v_cvt_pk_fp8_f32 v163, v172, v173                          // 000000027C70: D2A200A3 00035BAC
	v_cvt_pk_fp8_f32 v163, v174, v175 op_sel:[0,0,1]           // 000000027C78: D2A240A3 00035FAE
	ds_write_b32 v10, v160 offset:37376                        // 000000027C80: D81A9200 0000A00A
	ds_write_b32 v10, v161 offset:38400                        // 000000027C88: D81A9600 0000A10A
	ds_write_b32 v10, v162 offset:39424                        // 000000027C90: D81A9A00 0000A20A
	ds_write_b32 v10, v163 offset:40448                        // 000000027C98: D81A9E00 0000A30A
	v_add_f32_e32 v232, v232, v200                             // 000000027CA0: 03D191E8
	v_add_f32_e32 v233, v233, v201                             // 000000027CA4: 03D393E9
	v_add_f32_e32 v234, v234, v202                             // 000000027CA8: 03D595EA
	v_add_f32_e32 v235, v235, v203                             // 000000027CAC: 03D797EB
	v_add_f32_e32 v236, v236, v204                             // 000000027CB0: 03D999EC
	v_add_f32_e32 v237, v237, v205                             // 000000027CB4: 03DB9BED
	v_add_f32_e32 v238, v238, v206                             // 000000027CB8: 03DD9DEE
	v_add_f32_e32 v239, v239, v207                             // 000000027CBC: 03DF9FEF
	v_rcp_f32_e32 v47, v48                                     // 000000027CC0: 7E5E4530
	s_waitcnt lgkmcnt(0)                                       // 000000027CC4: BF8CC07F
	s_barrier                                                  // 000000027CC8: BF8A0000
	ds_read_b64 v[160:161], v9 offset:37376                    // 000000027CCC: D8EC9200 A0000009
	ds_read_b64 v[162:163], v9 offset:37504                    // 000000027CD4: D8EC9280 A2000009
	ds_read_b64 v[164:165], v9 offset:38400                    // 000000027CDC: D8EC9600 A4000009
	ds_read_b64 v[166:167], v9 offset:38528                    // 000000027CE4: D8EC9680 A6000009
	ds_read_b64 v[168:169], v9 offset:39424                    // 000000027CEC: D8EC9A00 A8000009
	ds_read_b64 v[170:171], v9 offset:39552                    // 000000027CF4: D8EC9A80 AA000009
	ds_read_b64 v[172:173], v9 offset:40448                    // 000000027CFC: D8EC9E00 AC000009
	ds_read_b64 v[174:175], v9 offset:40576                    // 000000027D04: D8EC9E80 AE000009
	s_waitcnt vmcnt(15)                                        // 000000027D0C: BF8C0F7F
	v_mfma_f32_16x16x32_fp8_fp8 v[176:179], a[96:97], v[112:113], 0// 000000027D10: D3F300B0 0A02E160
	buffer_load_dwordx4 a[80:83], v30, s[20:23], 0 offen offset:1024// 000000027D18: E05C1400 8085501E
	v_mfma_f32_16x16x32_fp8_fp8 v[176:179], a[98:99], v[114:115], v[176:179]// 000000027D20: D3F300B0 0EC2E562
	v_mfma_f32_16x16x32_fp8_fp8 v[176:179], a[100:101], v[116:117], v[176:179]// 000000027D28: D3F300B0 0EC2E964
	v_mfma_f32_16x16x32_fp8_fp8 v[176:179], a[102:103], v[118:119], v[176:179]// 000000027D30: D3F300B0 0EC2ED66
	v_mfma_f32_16x16x32_fp8_fp8 v[176:179], a[104:105], v[120:121], v[176:179]// 000000027D38: D3F300B0 0EC2F168
	buffer_load_dwordx4 a[84:87], v31, s[20:23], 0 offen offset:1024// 000000027D40: E05C1400 8085541F
	v_mfma_f32_16x16x32_fp8_fp8 v[176:179], a[106:107], v[122:123], v[176:179]// 000000027D48: D3F300B0 0EC2F56A
	v_mfma_f32_16x16x32_fp8_fp8 v[176:179], a[108:109], v[124:125], v[176:179]// 000000027D50: D3F300B0 0EC2F96C
	v_mfma_f32_16x16x32_fp8_fp8 v[176:179], a[110:111], v[126:127], v[176:179]// 000000027D58: D3F300B0 0EC2FD6E
	v_mfma_f32_16x16x32_fp8_fp8 v[180:183], a[112:113], v[112:113], 0// 000000027D60: D3F300B4 0A02E170
	buffer_load_dwordx4 a[88:91], v32, s[20:23], 0 offen offset:1024// 000000027D68: E05C1400 80855820
	v_mfma_f32_16x16x32_fp8_fp8 v[180:183], a[114:115], v[114:115], v[180:183]// 000000027D70: D3F300B4 0ED2E572
	v_mfma_f32_16x16x32_fp8_fp8 v[180:183], a[116:117], v[116:117], v[180:183]// 000000027D78: D3F300B4 0ED2E974
	v_mfma_f32_16x16x32_fp8_fp8 v[180:183], a[118:119], v[118:119], v[180:183]// 000000027D80: D3F300B4 0ED2ED76
	v_mfma_f32_16x16x32_fp8_fp8 v[180:183], a[120:121], v[120:121], v[180:183]// 000000027D88: D3F300B4 0ED2F178
	buffer_load_dwordx4 a[92:95], v33, s[20:23], 0 offen offset:1024// 000000027D90: E05C1400 80855C21
	v_mfma_f32_16x16x32_fp8_fp8 v[180:183], a[122:123], v[122:123], v[180:183]// 000000027D98: D3F300B4 0ED2F57A
	v_mfma_f32_16x16x32_fp8_fp8 v[180:183], a[124:125], v[124:125], v[180:183]// 000000027DA0: D3F300B4 0ED2F97C
	s_lshr_b32 s57, s70, 4                                     // 000000027DA8: 8F398446
	s_add_u32 s57, 48, s57                                     // 000000027DAC: 803939B0
	v_mfma_f32_16x16x32_fp8_fp8 v[180:183], a[126:127], v[126:127], v[180:183]// 000000027DB0: D3F300B4 0ED2FD7E
	s_cmp_ge_u32 s57, s73                                      // 000000027DB8: BF094939
	s_cselect_b32 s56, 0, s56                                  // 000000027DBC: 85383880
	v_mfma_f32_16x16x32_fp8_fp8 v[184:187], a[96:97], v[128:129], 0// 000000027DC0: D3F300B8 0A030160
	v_mfma_f32_16x16x32_fp8_fp8 v[184:187], a[98:99], v[130:131], v[184:187]// 000000027DC8: D3F300B8 0EE30562
	v_mfma_f32_16x16x32_fp8_fp8 v[184:187], a[100:101], v[132:133], v[184:187]// 000000027DD0: D3F300B8 0EE30964
	v_mfma_f32_16x16x32_fp8_fp8 v[184:187], a[102:103], v[134:135], v[184:187]// 000000027DD8: D3F300B8 0EE30D66
	v_mfma_f32_16x16x32_fp8_fp8 v[184:187], a[104:105], v[136:137], v[184:187]// 000000027DE0: D3F300B8 0EE31168
	v_mfma_f32_16x16x32_fp8_fp8 v[184:187], a[106:107], v[138:139], v[184:187]// 000000027DE8: D3F300B8 0EE3156A
	v_mfma_f32_16x16x32_fp8_fp8 v[184:187], a[108:109], v[140:141], v[184:187]// 000000027DF0: D3F300B8 0EE3196C
	v_mfma_f32_16x16x32_fp8_fp8 v[184:187], a[110:111], v[142:143], v[184:187]// 000000027DF8: D3F300B8 0EE31D6E
	v_mfma_f32_16x16x32_fp8_fp8 v[188:191], a[112:113], v[128:129], 0// 000000027E00: D3F300BC 0A030170
	v_mfma_f32_16x16x32_fp8_fp8 v[188:191], a[114:115], v[130:131], v[188:191]// 000000027E08: D3F300BC 0EF30572
	v_mfma_f32_16x16x32_fp8_fp8 v[188:191], a[116:117], v[132:133], v[188:191]// 000000027E10: D3F300BC 0EF30974
	v_mfma_f32_16x16x32_fp8_fp8 v[188:191], a[118:119], v[134:135], v[188:191]// 000000027E18: D3F300BC 0EF30D76
	v_mfma_f32_16x16x32_fp8_fp8 v[188:191], a[120:121], v[136:137], v[188:191]// 000000027E20: D3F300BC 0EF31178
	v_mfma_f32_16x16x32_fp8_fp8 v[188:191], a[122:123], v[138:139], v[188:191]// 000000027E28: D3F300BC 0EF3157A
	v_mfma_f32_16x16x32_fp8_fp8 v[188:191], a[124:125], v[140:141], v[188:191]// 000000027E30: D3F300BC 0EF3197C
	v_mfma_f32_16x16x32_fp8_fp8 v[188:191], a[126:127], v[142:143], v[188:191]// 000000027E38: D3F300BC 0EF31D7E
	v_mfma_f32_16x16x32_fp8_fp8 v[192:195], a[96:97], v[144:145], 0// 000000027E40: D3F300C0 0A032160
	v_mfma_f32_16x16x32_fp8_fp8 v[192:195], a[98:99], v[146:147], v[192:195]// 000000027E48: D3F300C0 0F032562
	v_mfma_f32_16x16x32_fp8_fp8 v[192:195], a[100:101], v[148:149], v[192:195]// 000000027E50: D3F300C0 0F032964
	v_mfma_f32_16x16x32_fp8_fp8 v[192:195], a[102:103], v[150:151], v[192:195]// 000000027E58: D3F300C0 0F032D66
	v_mfma_f32_16x16x32_fp8_fp8 v[192:195], a[104:105], v[152:153], v[192:195]// 000000027E60: D3F300C0 0F033168
	v_mfma_f32_16x16x32_fp8_fp8 v[192:195], a[106:107], v[154:155], v[192:195]// 000000027E68: D3F300C0 0F03356A
	v_mfma_f32_16x16x32_fp8_fp8 v[192:195], a[108:109], v[156:157], v[192:195]// 000000027E70: D3F300C0 0F03396C
	v_mfma_f32_16x16x32_fp8_fp8 v[192:195], a[110:111], v[158:159], v[192:195]// 000000027E78: D3F300C0 0F033D6E
	v_mfma_f32_16x16x32_fp8_fp8 v[196:199], a[112:113], v[144:145], 0// 000000027E80: D3F300C4 0A032170
	v_mfma_f32_16x16x32_fp8_fp8 v[196:199], a[114:115], v[146:147], v[196:199]// 000000027E88: D3F300C4 0F132572
	v_mfma_f32_16x16x32_fp8_fp8 v[196:199], a[116:117], v[148:149], v[196:199]// 000000027E90: D3F300C4 0F132974
	v_mfma_f32_16x16x32_fp8_fp8 v[196:199], a[118:119], v[150:151], v[196:199]// 000000027E98: D3F300C4 0F132D76
	v_mfma_f32_16x16x32_fp8_fp8 v[196:199], a[120:121], v[152:153], v[196:199]// 000000027EA0: D3F300C4 0F133178
	v_mfma_f32_16x16x32_fp8_fp8 v[196:199], a[122:123], v[154:155], v[196:199]// 000000027EA8: D3F300C4 0F13357A
	v_mfma_f32_16x16x32_fp8_fp8 v[196:199], a[124:125], v[156:157], v[196:199]// 000000027EB0: D3F300C4 0F13397C
	v_mfma_f32_16x16x32_fp8_fp8 v[196:199], a[126:127], v[158:159], v[196:199]// 000000027EB8: D3F300C4 0F133D7E
	v_mfma_f32_16x16x32_fp8_fp8 v[200:203], a[96:97], v[160:161], 0// 000000027EC0: D3F300C8 0A034160
	v_mfma_f32_16x16x32_fp8_fp8 v[200:203], a[98:99], v[162:163], v[200:203]// 000000027EC8: D3F300C8 0F234562
	v_mfma_f32_16x16x32_fp8_fp8 v[200:203], a[100:101], v[164:165], v[200:203]// 000000027ED0: D3F300C8 0F234964
	v_mfma_f32_16x16x32_fp8_fp8 v[200:203], a[102:103], v[166:167], v[200:203]// 000000027ED8: D3F300C8 0F234D66
	v_mfma_f32_16x16x32_fp8_fp8 v[200:203], a[104:105], v[168:169], v[200:203]// 000000027EE0: D3F300C8 0F235168
	v_mfma_f32_16x16x32_fp8_fp8 v[200:203], a[106:107], v[170:171], v[200:203]// 000000027EE8: D3F300C8 0F23556A
	v_mfma_f32_16x16x32_fp8_fp8 v[200:203], a[108:109], v[172:173], v[200:203]// 000000027EF0: D3F300C8 0F23596C
	v_mfma_f32_16x16x32_fp8_fp8 v[200:203], a[110:111], v[174:175], v[200:203]// 000000027EF8: D3F300C8 0F235D6E
	v_mfma_f32_16x16x32_fp8_fp8 v[204:207], a[112:113], v[160:161], 0// 000000027F00: D3F300CC 0A034170
	v_mfma_f32_16x16x32_fp8_fp8 v[204:207], a[114:115], v[162:163], v[204:207]// 000000027F08: D3F300CC 0F334572
	v_mfma_f32_16x16x32_fp8_fp8 v[204:207], a[116:117], v[164:165], v[204:207]// 000000027F10: D3F300CC 0F334974
	v_mfma_f32_16x16x32_fp8_fp8 v[204:207], a[118:119], v[166:167], v[204:207]// 000000027F18: D3F300CC 0F334D76
	v_mfma_f32_16x16x32_fp8_fp8 v[204:207], a[120:121], v[168:169], v[204:207]// 000000027F20: D3F300CC 0F335178
	v_mfma_f32_16x16x32_fp8_fp8 v[204:207], a[122:123], v[170:171], v[204:207]// 000000027F28: D3F300CC 0F33557A
	v_mfma_f32_16x16x32_fp8_fp8 v[204:207], a[124:125], v[172:173], v[204:207]// 000000027F30: D3F300CC 0F33597C
	v_mfma_f32_16x16x32_fp8_fp8 v[204:207], a[126:127], v[174:175], v[204:207]// 000000027F38: D3F300CC 0F335D7E
	v_add_u32_e32 v1, s56, v1                                  // 000000027F40: 68020238
	s_addk_i32 s70, 0x100                                      // 000000027F44: B7460100
	s_cmp_lt_i32 s70, s71                                      // 000000027F48: BF044746
	s_cbranch_scc0 label_835B                                  // 000000027F4C: BF84EC07
	s_branch label_835E                                        // 000000027F50: BF82EC09

0000000000027f54 <label_9755>:
	s_lshr_b32 s60, s71, 4                                     // 000000027F54: 8F3C8447
	s_cmp_eq_i32 s60, s73                                      // 000000027F58: BF00493C
	s_cbranch_scc1 label_AE3A                                  // 000000027F5C: BF8516E2
	s_lshr_b32 s60, s71, 8                                     // 000000027F60: 8F3C8847
	s_and_b32 s60, s60, 1                                      // 000000027F64: 863C813C
	s_cmp_eq_i32 s60, 1                                        // 000000027F68: BF00813C
	s_cbranch_scc1 label_A2CB                                  // 000000027F6C: BF850B6F
	s_waitcnt vmcnt(8) lgkmcnt(0)                              // 000000027F70: BF8C0078
	s_barrier                                                  // 000000027F74: BF8A0000
	v_mfma_f32_16x16x32_fp8_fp8 v[112:115], a[0:1], v[80:81], 0// 000000027F78: D3F30070 0A02A100
	v_mfma_f32_16x16x32_fp8_fp8 v[112:115], a[2:3], v[82:83], v[112:115]// 000000027F80: D3F30070 0DC2A502
	v_mfma_f32_16x16x32_fp8_fp8 v[112:115], a[4:5], v[84:85], v[112:115]// 000000027F88: D3F30070 0DC2A904
	v_mfma_f32_16x16x32_fp8_fp8 v[112:115], a[6:7], v[86:87], v[112:115]// 000000027F90: D3F30070 0DC2AD06
	v_mfma_f32_16x16x32_fp8_fp8 v[116:119], a[8:9], v[80:81], 0// 000000027F98: D3F30074 0A02A108
	v_mfma_f32_16x16x32_fp8_fp8 v[116:119], a[10:11], v[82:83], v[116:119]// 000000027FA0: D3F30074 0DD2A50A
	v_mfma_f32_16x16x32_fp8_fp8 v[116:119], a[12:13], v[84:85], v[116:119]// 000000027FA8: D3F30074 0DD2A90C
	v_mfma_f32_16x16x32_fp8_fp8 v[116:119], a[14:15], v[86:87], v[116:119]// 000000027FB0: D3F30074 0DD2AD0E
	v_mfma_f32_16x16x32_fp8_fp8 v[120:123], a[16:17], v[80:81], 0// 000000027FB8: D3F30078 0A02A110
	v_mfma_f32_16x16x32_fp8_fp8 v[120:123], a[18:19], v[82:83], v[120:123]// 000000027FC0: D3F30078 0DE2A512
	v_mfma_f32_16x16x32_fp8_fp8 v[120:123], a[20:21], v[84:85], v[120:123]// 000000027FC8: D3F30078 0DE2A914
	v_mfma_f32_16x16x32_fp8_fp8 v[120:123], a[22:23], v[86:87], v[120:123]// 000000027FD0: D3F30078 0DE2AD16
	v_mfma_f32_16x16x32_fp8_fp8 v[124:127], a[24:25], v[80:81], 0// 000000027FD8: D3F3007C 0A02A118
	v_mfma_f32_16x16x32_fp8_fp8 v[124:127], a[26:27], v[82:83], v[124:127]// 000000027FE0: D3F3007C 0DF2A51A
	v_mfma_f32_16x16x32_fp8_fp8 v[124:127], a[28:29], v[84:85], v[124:127]// 000000027FE8: D3F3007C 0DF2A91C
	v_mfma_f32_16x16x32_fp8_fp8 v[124:127], a[30:31], v[86:87], v[124:127]// 000000027FF0: D3F3007C 0DF2AD1E
	v_mfma_f32_16x16x32_fp8_fp8 v[128:131], a[0:1], v[88:89], 0// 000000027FF8: D3F30080 0A02B100
	v_mfma_f32_16x16x32_fp8_fp8 v[128:131], a[2:3], v[90:91], v[128:131]// 000000028000: D3F30080 0E02B502
	v_mfma_f32_16x16x32_fp8_fp8 v[128:131], a[4:5], v[92:93], v[128:131]// 000000028008: D3F30080 0E02B904
	v_mfma_f32_16x16x32_fp8_fp8 v[128:131], a[6:7], v[94:95], v[128:131]// 000000028010: D3F30080 0E02BD06
	v_mfma_f32_16x16x32_fp8_fp8 v[132:135], a[8:9], v[88:89], 0// 000000028018: D3F30084 0A02B108
	v_mfma_f32_16x16x32_fp8_fp8 v[132:135], a[10:11], v[90:91], v[132:135]// 000000028020: D3F30084 0E12B50A
	v_mfma_f32_16x16x32_fp8_fp8 v[132:135], a[12:13], v[92:93], v[132:135]// 000000028028: D3F30084 0E12B90C
	v_mfma_f32_16x16x32_fp8_fp8 v[132:135], a[14:15], v[94:95], v[132:135]// 000000028030: D3F30084 0E12BD0E
	v_mfma_f32_16x16x32_fp8_fp8 v[136:139], a[16:17], v[88:89], 0// 000000028038: D3F30088 0A02B110
	v_mfma_f32_16x16x32_fp8_fp8 v[136:139], a[18:19], v[90:91], v[136:139]// 000000028040: D3F30088 0E22B512
	v_mfma_f32_16x16x32_fp8_fp8 v[136:139], a[20:21], v[92:93], v[136:139]// 000000028048: D3F30088 0E22B914
	v_mfma_f32_16x16x32_fp8_fp8 v[136:139], a[22:23], v[94:95], v[136:139]// 000000028050: D3F30088 0E22BD16
	v_mfma_f32_16x16x32_fp8_fp8 v[140:143], a[24:25], v[88:89], 0// 000000028058: D3F3008C 0A02B118
	v_mfma_f32_16x16x32_fp8_fp8 v[140:143], a[26:27], v[90:91], v[140:143]// 000000028060: D3F3008C 0E32B51A
	v_mfma_f32_16x16x32_fp8_fp8 v[140:143], a[28:29], v[92:93], v[140:143]// 000000028068: D3F3008C 0E32B91C
	v_mfma_f32_16x16x32_fp8_fp8 v[140:143], a[30:31], v[94:95], v[140:143]// 000000028070: D3F3008C 0E32BD1E
	v_mfma_f32_16x16x32_fp8_fp8 v[144:147], a[0:1], v[96:97], 0// 000000028078: D3F30090 0A02C100
	v_mfma_f32_16x16x32_fp8_fp8 v[144:147], a[2:3], v[98:99], v[144:147]// 000000028080: D3F30090 0E42C502
	v_mfma_f32_16x16x32_fp8_fp8 v[144:147], a[4:5], v[100:101], v[144:147]// 000000028088: D3F30090 0E42C904
	v_mfma_f32_16x16x32_fp8_fp8 v[144:147], a[6:7], v[102:103], v[144:147]// 000000028090: D3F30090 0E42CD06
	v_mfma_f32_16x16x32_fp8_fp8 v[148:151], a[8:9], v[96:97], 0// 000000028098: D3F30094 0A02C108
	v_mfma_f32_16x16x32_fp8_fp8 v[148:151], a[10:11], v[98:99], v[148:151]// 0000000280A0: D3F30094 0E52C50A
	v_mfma_f32_16x16x32_fp8_fp8 v[148:151], a[12:13], v[100:101], v[148:151]// 0000000280A8: D3F30094 0E52C90C
	v_mfma_f32_16x16x32_fp8_fp8 v[148:151], a[14:15], v[102:103], v[148:151]// 0000000280B0: D3F30094 0E52CD0E
	v_mfma_f32_16x16x32_fp8_fp8 v[152:155], a[16:17], v[96:97], 0// 0000000280B8: D3F30098 0A02C110
	v_mfma_f32_16x16x32_fp8_fp8 v[152:155], a[18:19], v[98:99], v[152:155]// 0000000280C0: D3F30098 0E62C512
	v_mfma_f32_16x16x32_fp8_fp8 v[152:155], a[20:21], v[100:101], v[152:155]// 0000000280C8: D3F30098 0E62C914
	v_mfma_f32_16x16x32_fp8_fp8 v[152:155], a[22:23], v[102:103], v[152:155]// 0000000280D0: D3F30098 0E62CD16
	v_mfma_f32_16x16x32_fp8_fp8 v[156:159], a[24:25], v[96:97], 0// 0000000280D8: D3F3009C 0A02C118
	v_mfma_f32_16x16x32_fp8_fp8 v[156:159], a[26:27], v[98:99], v[156:159]// 0000000280E0: D3F3009C 0E72C51A
	v_mfma_f32_16x16x32_fp8_fp8 v[156:159], a[28:29], v[100:101], v[156:159]// 0000000280E8: D3F3009C 0E72C91C
	v_mfma_f32_16x16x32_fp8_fp8 v[156:159], a[30:31], v[102:103], v[156:159]// 0000000280F0: D3F3009C 0E72CD1E
	v_mfma_f32_16x16x32_fp8_fp8 v[160:163], a[0:1], v[104:105], 0// 0000000280F8: D3F300A0 0A02D100
	v_mfma_f32_16x16x32_fp8_fp8 v[160:163], a[2:3], v[106:107], v[160:163]// 000000028100: D3F300A0 0E82D502
	v_mfma_f32_16x16x32_fp8_fp8 v[160:163], a[4:5], v[108:109], v[160:163]// 000000028108: D3F300A0 0E82D904
	v_mfma_f32_16x16x32_fp8_fp8 v[160:163], a[6:7], v[110:111], v[160:163]// 000000028110: D3F300A0 0E82DD06
	v_mfma_f32_16x16x32_fp8_fp8 v[164:167], a[8:9], v[104:105], 0// 000000028118: D3F300A4 0A02D108
	v_mfma_f32_16x16x32_fp8_fp8 v[164:167], a[10:11], v[106:107], v[164:167]// 000000028120: D3F300A4 0E92D50A
	v_mfma_f32_16x16x32_fp8_fp8 v[164:167], a[12:13], v[108:109], v[164:167]// 000000028128: D3F300A4 0E92D90C
	v_mfma_f32_16x16x32_fp8_fp8 v[164:167], a[14:15], v[110:111], v[164:167]// 000000028130: D3F300A4 0E92DD0E
	v_mfma_f32_16x16x32_fp8_fp8 v[168:171], a[16:17], v[104:105], 0// 000000028138: D3F300A8 0A02D110
	v_mfma_f32_16x16x32_fp8_fp8 v[168:171], a[18:19], v[106:107], v[168:171]// 000000028140: D3F300A8 0EA2D512
	v_mfma_f32_16x16x32_fp8_fp8 v[168:171], a[20:21], v[108:109], v[168:171]// 000000028148: D3F300A8 0EA2D914
	v_mfma_f32_16x16x32_fp8_fp8 v[168:171], a[22:23], v[110:111], v[168:171]// 000000028150: D3F300A8 0EA2DD16
	v_mfma_f32_16x16x32_fp8_fp8 v[172:175], a[24:25], v[104:105], 0// 000000028158: D3F300AC 0A02D118
	v_mfma_f32_16x16x32_fp8_fp8 v[172:175], a[26:27], v[106:107], v[172:175]// 000000028160: D3F300AC 0EB2D51A
	v_mfma_f32_16x16x32_fp8_fp8 v[172:175], a[28:29], v[108:109], v[172:175]// 000000028168: D3F300AC 0EB2D91C
	v_mfma_f32_16x16x32_fp8_fp8 v[172:175], a[30:31], v[110:111], v[172:175]// 000000028170: D3F300AC 0EB2DD1E
	v_mov_b32_dpp v64, v42 row_shr:4 row_mask:0xf bank_mask:0xf// 000000028178: 7E8002FA FF01142A
	v_mov_b32_dpp v65, v42 row_shl:4 row_mask:0xf bank_mask:0xf// 000000028180: 7E8202FA FF01042A
	v_cndmask_b32_e64 v248, v42, v64, s[44:45]                 // 000000028188: D10000F8 00B2812A
	v_cndmask_b32_e64 v249, v65, v42, s[44:45]                 // 000000028190: D10000F9 00B25541
	v_mov_b32_dpp v64, v248 row_shr:8 row_mask:0xf bank_mask:0xf// 000000028198: 7E8002FA FF0118F8
	v_mov_b32_dpp v65, v248 row_shl:8 row_mask:0xf bank_mask:0xf// 0000000281A0: 7E8202FA FF0108F8
	v_mov_b32_dpp v66, v249 row_shr:8 row_mask:0xf bank_mask:0xf// 0000000281A8: 7E8402FA FF0118F9
	v_mov_b32_dpp v67, v249 row_shl:8 row_mask:0xf bank_mask:0xf// 0000000281B0: 7E8602FA FF0108F9
	v_mov_b32_e32 v68, v248                                    // 0000000281B8: 7E8803F8
	v_mov_b32_e32 v69, v249                                    // 0000000281BC: 7E8A03F9
	v_cndmask_b32_e64 v248, v68, v64, s[42:43]                 // 0000000281C0: D10000F8 00AA8144
	v_cndmask_b32_e64 v250, v68, v65, s[78:79]                 // 0000000281C8: D10000FA 013A8344
	v_cndmask_b32_e64 v249, v69, v66, s[42:43]                 // 0000000281D0: D10000F9 00AA8545
	v_cndmask_b32_e64 v251, v69, v67, s[78:79]                 // 0000000281D8: D10000FB 013A8745
	v_mov_b32_dpp v64, v57 row_shr:4 row_mask:0xf bank_mask:0xf// 0000000281E0: 7E8002FA FF011439
	v_mov_b32_dpp v65, v57 row_shl:4 row_mask:0xf bank_mask:0xf// 0000000281E8: 7E8202FA FF010439
	v_cndmask_b32_e64 v252, v57, v64, s[44:45]                 // 0000000281F0: D10000FC 00B28139
	v_cndmask_b32_e64 v253, v65, v57, s[44:45]                 // 0000000281F8: D10000FD 00B27341
	v_mov_b32_dpp v64, v252 row_shr:8 row_mask:0xf bank_mask:0xf// 000000028200: 7E8002FA FF0118FC
	v_mov_b32_dpp v65, v252 row_shl:8 row_mask:0xf bank_mask:0xf// 000000028208: 7E8202FA FF0108FC
	v_mov_b32_dpp v66, v253 row_shr:8 row_mask:0xf bank_mask:0xf// 000000028210: 7E8402FA FF0118FD
	v_mov_b32_dpp v67, v253 row_shl:8 row_mask:0xf bank_mask:0xf// 000000028218: 7E8602FA FF0108FD
	v_mov_b32_e32 v68, v252                                    // 000000028220: 7E8803FC
	v_mov_b32_e32 v69, v253                                    // 000000028224: 7E8A03FD
	v_cndmask_b32_e64 v252, v68, v64, s[42:43]                 // 000000028228: D10000FC 00AA8144
	v_cndmask_b32_e64 v254, v68, v65, s[78:79]                 // 000000028230: D10000FE 013A8344
	v_cndmask_b32_e64 v253, v69, v66, s[42:43]                 // 000000028238: D10000FD 00AA8545
	v_cndmask_b32_e64 v255, v69, v67, s[78:79]                 // 000000028240: D10000FF 013A8745
	v_mul_f32_e32 v112, v18, v112                              // 000000028248: 0AE0E112
	v_mul_f32_e32 v113, v18, v113                              // 00000002824C: 0AE2E312
	v_mul_f32_e32 v114, v18, v114                              // 000000028250: 0AE4E512
	v_mul_f32_e32 v115, v18, v115                              // 000000028254: 0AE6E712
	v_mul_f32_e32 v116, v18, v116                              // 000000028258: 0AE8E912
	v_mul_f32_e32 v117, v18, v117                              // 00000002825C: 0AEAEB12
	v_mul_f32_e32 v118, v18, v118                              // 000000028260: 0AECED12
	v_mul_f32_e32 v119, v18, v119                              // 000000028264: 0AEEEF12
	v_mul_f32_e32 v120, v18, v120                              // 000000028268: 0AF0F112
	v_mul_f32_e32 v121, v18, v121                              // 00000002826C: 0AF2F312
	v_mul_f32_e32 v122, v18, v122                              // 000000028270: 0AF4F512
	v_mul_f32_e32 v123, v18, v123                              // 000000028274: 0AF6F712
	v_mul_f32_e32 v124, v18, v124                              // 000000028278: 0AF8F912
	v_mul_f32_e32 v125, v18, v125                              // 00000002827C: 0AFAFB12
	v_mul_f32_e32 v126, v18, v126                              // 000000028280: 0AFCFD12
	v_mul_f32_e32 v127, v18, v127                              // 000000028284: 0AFEFF12
	v_mul_f32_dpp v112, v248, v112 quad_perm:[0,0,0,0] row_mask:0xf bank_mask:0xf// 000000028288: 0AE0E0FA FF0000F8
	v_mul_f32_dpp v113, v248, v113 quad_perm:[1,1,1,1] row_mask:0xf bank_mask:0xf// 000000028290: 0AE2E2FA FF0055F8
	v_mul_f32_dpp v114, v248, v114 quad_perm:[2,2,2,2] row_mask:0xf bank_mask:0xf// 000000028298: 0AE4E4FA FF00AAF8
	v_mul_f32_dpp v115, v248, v115 quad_perm:[3,3,3,3] row_mask:0xf bank_mask:0xf// 0000000282A0: 0AE6E6FA FF00FFF8
	v_mul_f32_dpp v116, v249, v116 quad_perm:[0,0,0,0] row_mask:0xf bank_mask:0xf// 0000000282A8: 0AE8E8FA FF0000F9
	v_mul_f32_dpp v117, v249, v117 quad_perm:[1,1,1,1] row_mask:0xf bank_mask:0xf// 0000000282B0: 0AEAEAFA FF0055F9
	v_mul_f32_dpp v118, v249, v118 quad_perm:[2,2,2,2] row_mask:0xf bank_mask:0xf// 0000000282B8: 0AECECFA FF00AAF9
	v_mul_f32_dpp v119, v249, v119 quad_perm:[3,3,3,3] row_mask:0xf bank_mask:0xf// 0000000282C0: 0AEEEEFA FF00FFF9
	v_mul_f32_dpp v120, v250, v120 quad_perm:[0,0,0,0] row_mask:0xf bank_mask:0xf// 0000000282C8: 0AF0F0FA FF0000FA
	v_mul_f32_dpp v121, v250, v121 quad_perm:[1,1,1,1] row_mask:0xf bank_mask:0xf// 0000000282D0: 0AF2F2FA FF0055FA
	v_mul_f32_dpp v122, v250, v122 quad_perm:[2,2,2,2] row_mask:0xf bank_mask:0xf// 0000000282D8: 0AF4F4FA FF00AAFA
	v_mul_f32_dpp v123, v250, v123 quad_perm:[3,3,3,3] row_mask:0xf bank_mask:0xf// 0000000282E0: 0AF6F6FA FF00FFFA
	v_mul_f32_dpp v124, v251, v124 quad_perm:[0,0,0,0] row_mask:0xf bank_mask:0xf// 0000000282E8: 0AF8F8FA FF0000FB
	v_mul_f32_dpp v125, v251, v125 quad_perm:[1,1,1,1] row_mask:0xf bank_mask:0xf// 0000000282F0: 0AFAFAFA FF0055FB
	v_mul_f32_dpp v126, v251, v126 quad_perm:[2,2,2,2] row_mask:0xf bank_mask:0xf// 0000000282F8: 0AFCFCFA FF00AAFB
	v_mul_f32_dpp v127, v251, v127 quad_perm:[3,3,3,3] row_mask:0xf bank_mask:0xf// 000000028300: 0AFEFEFA FF00FFFB
	s_cmp_le_i32 s90, s89                                      // 000000028308: BF05595A
	s_cbranch_scc1 label_98B5                                  // 00000002830C: BF850071
	v_mov_b32_e32 v66, 0xff800000                              // 000000028310: 7E8402FF FF800000
	s_mov_b32 s60, s90                                         // 000000028318: BEBC005A
	s_add_u32 s61, s89, 0xff                                   // 00000002831C: 803DFF59 000000FF
	v_mov_b32_e32 v64, s61                                     // 000000028324: 7E80023D
	v_lshrrev_b32_e32 v240, 4, v0                              // 000000028328: 21E00084
	v_mul_i32_i24_e32 v240, 4, v240                            // 00000002832C: 0DE1E084
	v_add_u32_e32 v240, s60, v240                              // 000000028330: 69E1E03C
	s_mov_b32 s61, 0                                           // 000000028334: BEBD0080
	s_mul_i32 s60, 16, s7                                      // 000000028338: 923C0790
	v_sub_u32_e64 v240, v240, s61                              // 00000002833C: D13500F0 00007BF0
	v_add_u32_e32 v240, s60, v240                              // 000000028344: 69E1E03C
	v_add_u32_e32 v241, 1, v240                                // 000000028348: 69E3E081
	v_add_u32_e32 v242, 2, v240                                // 00000002834C: 69E5E082
	v_add_u32_e32 v243, 3, v240                                // 000000028350: 69E7E083
	v_cmp_le_u32_e64 s[40:41], v240, v64                       // 000000028354: D0CB0028 000281F0
	v_add_u32_e32 v240, 64, v240                               // 00000002835C: 69E1E0C0
	s_nop 0                                                    // 000000028360: BF800000
	v_cndmask_b32_e64 v112, v66, v112, s[40:41]                // 000000028364: D1000070 00A2E142
	v_cmp_le_u32_e64 s[40:41], v241, v64                       // 00000002836C: D0CB0028 000281F1
	v_add_u32_e32 v241, 64, v241                               // 000000028374: 69E3E2C0
	s_nop 0                                                    // 000000028378: BF800000
	v_cndmask_b32_e64 v113, v66, v113, s[40:41]                // 00000002837C: D1000071 00A2E342
	v_cmp_le_u32_e64 s[40:41], v242, v64                       // 000000028384: D0CB0028 000281F2
	v_add_u32_e32 v242, 64, v242                               // 00000002838C: 69E5E4C0
	s_nop 0                                                    // 000000028390: BF800000
	v_cndmask_b32_e64 v114, v66, v114, s[40:41]                // 000000028394: D1000072 00A2E542
	v_cmp_le_u32_e64 s[40:41], v243, v64                       // 00000002839C: D0CB0028 000281F3
	v_add_u32_e32 v243, 64, v243                               // 0000000283A4: 69E7E6C0
	s_nop 0                                                    // 0000000283A8: BF800000
	v_cndmask_b32_e64 v115, v66, v115, s[40:41]                // 0000000283AC: D1000073 00A2E742
	v_cmp_le_u32_e64 s[40:41], v240, v64                       // 0000000283B4: D0CB0028 000281F0
	v_add_u32_e32 v240, 64, v240                               // 0000000283BC: 69E1E0C0
	s_nop 0                                                    // 0000000283C0: BF800000
	v_cndmask_b32_e64 v116, v66, v116, s[40:41]                // 0000000283C4: D1000074 00A2E942
	v_cmp_le_u32_e64 s[40:41], v241, v64                       // 0000000283CC: D0CB0028 000281F1
	v_add_u32_e32 v241, 64, v241                               // 0000000283D4: 69E3E2C0
	s_nop 0                                                    // 0000000283D8: BF800000
	v_cndmask_b32_e64 v117, v66, v117, s[40:41]                // 0000000283DC: D1000075 00A2EB42
	v_cmp_le_u32_e64 s[40:41], v242, v64                       // 0000000283E4: D0CB0028 000281F2
	v_add_u32_e32 v242, 64, v242                               // 0000000283EC: 69E5E4C0
	s_nop 0                                                    // 0000000283F0: BF800000
	v_cndmask_b32_e64 v118, v66, v118, s[40:41]                // 0000000283F4: D1000076 00A2ED42
	v_cmp_le_u32_e64 s[40:41], v243, v64                       // 0000000283FC: D0CB0028 000281F3
	v_add_u32_e32 v243, 64, v243                               // 000000028404: 69E7E6C0
	s_nop 0                                                    // 000000028408: BF800000
	v_cndmask_b32_e64 v119, v66, v119, s[40:41]                // 00000002840C: D1000077 00A2EF42
	v_cmp_le_u32_e64 s[40:41], v240, v64                       // 000000028414: D0CB0028 000281F0
	v_add_u32_e32 v240, 64, v240                               // 00000002841C: 69E1E0C0
	s_nop 0                                                    // 000000028420: BF800000
	v_cndmask_b32_e64 v120, v66, v120, s[40:41]                // 000000028424: D1000078 00A2F142
	v_cmp_le_u32_e64 s[40:41], v241, v64                       // 00000002842C: D0CB0028 000281F1
	v_add_u32_e32 v241, 64, v241                               // 000000028434: 69E3E2C0
	s_nop 0                                                    // 000000028438: BF800000
	v_cndmask_b32_e64 v121, v66, v121, s[40:41]                // 00000002843C: D1000079 00A2F342
	v_cmp_le_u32_e64 s[40:41], v242, v64                       // 000000028444: D0CB0028 000281F2
	v_add_u32_e32 v242, 64, v242                               // 00000002844C: 69E5E4C0
	s_nop 0                                                    // 000000028450: BF800000
	v_cndmask_b32_e64 v122, v66, v122, s[40:41]                // 000000028454: D100007A 00A2F542
	v_cmp_le_u32_e64 s[40:41], v243, v64                       // 00000002845C: D0CB0028 000281F3
	v_add_u32_e32 v243, 64, v243                               // 000000028464: 69E7E6C0
	s_nop 0                                                    // 000000028468: BF800000
	v_cndmask_b32_e64 v123, v66, v123, s[40:41]                // 00000002846C: D100007B 00A2F742
	v_cmp_le_u32_e64 s[40:41], v240, v64                       // 000000028474: D0CB0028 000281F0
	v_add_u32_e32 v240, 64, v240                               // 00000002847C: 69E1E0C0
	s_nop 0                                                    // 000000028480: BF800000
	v_cndmask_b32_e64 v124, v66, v124, s[40:41]                // 000000028484: D100007C 00A2F942
	v_cmp_le_u32_e64 s[40:41], v241, v64                       // 00000002848C: D0CB0028 000281F1
	v_add_u32_e32 v241, 64, v241                               // 000000028494: 69E3E2C0
	s_nop 0                                                    // 000000028498: BF800000
	v_cndmask_b32_e64 v125, v66, v125, s[40:41]                // 00000002849C: D100007D 00A2FB42
	v_cmp_le_u32_e64 s[40:41], v242, v64                       // 0000000284A4: D0CB0028 000281F2
	v_add_u32_e32 v242, 64, v242                               // 0000000284AC: 69E5E4C0
	s_nop 0                                                    // 0000000284B0: BF800000
	v_cndmask_b32_e64 v126, v66, v126, s[40:41]                // 0000000284B4: D100007E 00A2FD42
	v_cmp_le_u32_e64 s[40:41], v243, v64                       // 0000000284BC: D0CB0028 000281F3
	v_add_u32_e32 v243, 64, v243                               // 0000000284C4: 69E7E6C0
	s_nop 0                                                    // 0000000284C8: BF800000
	v_cndmask_b32_e64 v127, v66, v127, s[40:41]                // 0000000284CC: D100007F 00A2FF42

00000000000284d4 <label_98B5>:
	s_and_b32 s60, s72, 0xff                                   // 0000000284D4: 863CFF48 000000FF
	v_mov_b32_e32 v65, s60                                     // 0000000284DC: 7E82023C
	v_lshrrev_b32_e32 v240, 4, v0                              // 0000000284E0: 21E00084
	v_mul_i32_i24_e32 v240, 4, v240                            // 0000000284E4: 0DE1E084
	s_mul_i32 s60, s7, 16                                      // 0000000284E8: 923C9007
	v_add_u32_e32 v240, s60, v240                              // 0000000284EC: 69E1E03C
	v_add_u32_e32 v241, 1, v240                                // 0000000284F0: 69E3E081
	v_add_u32_e32 v242, 2, v240                                // 0000000284F4: 69E5E082
	v_add_u32_e32 v243, 3, v240                                // 0000000284F8: 69E7E083
	v_mov_b32_e32 v64, 0xff800000                              // 0000000284FC: 7E8002FF FF800000
	v_cmp_lt_u32_e64 s[40:41], v240, v65                       // 000000028504: D0C90028 000283F0
	v_add_u32_e32 v240, 64, v240                               // 00000002850C: 69E1E0C0
	s_nop 0                                                    // 000000028510: BF800000
	v_cndmask_b32_e64 v112, v64, v112, s[40:41]                // 000000028514: D1000070 00A2E140
	v_cmp_lt_u32_e64 s[40:41], v241, v65                       // 00000002851C: D0C90028 000283F1
	v_add_u32_e32 v241, 64, v241                               // 000000028524: 69E3E2C0
	s_nop 0                                                    // 000000028528: BF800000
	v_cndmask_b32_e64 v113, v64, v113, s[40:41]                // 00000002852C: D1000071 00A2E340
	v_cmp_lt_u32_e64 s[40:41], v242, v65                       // 000000028534: D0C90028 000283F2
	v_add_u32_e32 v242, 64, v242                               // 00000002853C: 69E5E4C0
	s_nop 0                                                    // 000000028540: BF800000
	v_cndmask_b32_e64 v114, v64, v114, s[40:41]                // 000000028544: D1000072 00A2E540
	v_cmp_lt_u32_e64 s[40:41], v243, v65                       // 00000002854C: D0C90028 000283F3
	v_add_u32_e32 v243, 64, v243                               // 000000028554: 69E7E6C0
	s_nop 0                                                    // 000000028558: BF800000
	v_cndmask_b32_e64 v115, v64, v115, s[40:41]                // 00000002855C: D1000073 00A2E740
	v_cmp_lt_u32_e64 s[40:41], v240, v65                       // 000000028564: D0C90028 000283F0
	v_add_u32_e32 v240, 64, v240                               // 00000002856C: 69E1E0C0
	s_nop 0                                                    // 000000028570: BF800000
	v_cndmask_b32_e64 v116, v64, v116, s[40:41]                // 000000028574: D1000074 00A2E940
	v_cmp_lt_u32_e64 s[40:41], v241, v65                       // 00000002857C: D0C90028 000283F1
	v_add_u32_e32 v241, 64, v241                               // 000000028584: 69E3E2C0
	s_nop 0                                                    // 000000028588: BF800000
	v_cndmask_b32_e64 v117, v64, v117, s[40:41]                // 00000002858C: D1000075 00A2EB40
	v_cmp_lt_u32_e64 s[40:41], v242, v65                       // 000000028594: D0C90028 000283F2
	v_add_u32_e32 v242, 64, v242                               // 00000002859C: 69E5E4C0
	s_nop 0                                                    // 0000000285A0: BF800000
	v_cndmask_b32_e64 v118, v64, v118, s[40:41]                // 0000000285A4: D1000076 00A2ED40
	v_cmp_lt_u32_e64 s[40:41], v243, v65                       // 0000000285AC: D0C90028 000283F3
	v_add_u32_e32 v243, 64, v243                               // 0000000285B4: 69E7E6C0
	s_nop 0                                                    // 0000000285B8: BF800000
	v_cndmask_b32_e64 v119, v64, v119, s[40:41]                // 0000000285BC: D1000077 00A2EF40
	v_cmp_lt_u32_e64 s[40:41], v240, v65                       // 0000000285C4: D0C90028 000283F0
	v_add_u32_e32 v240, 64, v240                               // 0000000285CC: 69E1E0C0
	s_nop 0                                                    // 0000000285D0: BF800000
	v_cndmask_b32_e64 v120, v64, v120, s[40:41]                // 0000000285D4: D1000078 00A2F140
	v_cmp_lt_u32_e64 s[40:41], v241, v65                       // 0000000285DC: D0C90028 000283F1
	v_add_u32_e32 v241, 64, v241                               // 0000000285E4: 69E3E2C0
	s_nop 0                                                    // 0000000285E8: BF800000
	v_cndmask_b32_e64 v121, v64, v121, s[40:41]                // 0000000285EC: D1000079 00A2F340
	v_cmp_lt_u32_e64 s[40:41], v242, v65                       // 0000000285F4: D0C90028 000283F2
	v_add_u32_e32 v242, 64, v242                               // 0000000285FC: 69E5E4C0
	s_nop 0                                                    // 000000028600: BF800000
	v_cndmask_b32_e64 v122, v64, v122, s[40:41]                // 000000028604: D100007A 00A2F540
	v_cmp_lt_u32_e64 s[40:41], v243, v65                       // 00000002860C: D0C90028 000283F3
	v_add_u32_e32 v243, 64, v243                               // 000000028614: 69E7E6C0
	s_nop 0                                                    // 000000028618: BF800000
	v_cndmask_b32_e64 v123, v64, v123, s[40:41]                // 00000002861C: D100007B 00A2F740
	v_cmp_lt_u32_e64 s[40:41], v240, v65                       // 000000028624: D0C90028 000283F0
	v_add_u32_e32 v240, 64, v240                               // 00000002862C: 69E1E0C0
	s_nop 0                                                    // 000000028630: BF800000
	v_cndmask_b32_e64 v124, v64, v124, s[40:41]                // 000000028634: D100007C 00A2F940
	v_cmp_lt_u32_e64 s[40:41], v241, v65                       // 00000002863C: D0C90028 000283F1
	v_add_u32_e32 v241, 64, v241                               // 000000028644: 69E3E2C0
	s_nop 0                                                    // 000000028648: BF800000
	v_cndmask_b32_e64 v125, v64, v125, s[40:41]                // 00000002864C: D100007D 00A2FB40
	v_cmp_lt_u32_e64 s[40:41], v242, v65                       // 000000028654: D0C90028 000283F2
	v_add_u32_e32 v242, 64, v242                               // 00000002865C: 69E5E4C0
	s_nop 0                                                    // 000000028660: BF800000
	v_cndmask_b32_e64 v126, v64, v126, s[40:41]                // 000000028664: D100007E 00A2FD40
	v_cmp_lt_u32_e64 s[40:41], v243, v65                       // 00000002866C: D0C90028 000283F3
	v_add_u32_e32 v243, 64, v243                               // 000000028674: 69E7E6C0
	s_nop 0                                                    // 000000028678: BF800000
	v_cndmask_b32_e64 v127, v64, v127, s[40:41]                // 00000002867C: D100007F 00A2FF40
	v_mov_b32_e32 v48, v112                                    // 000000028684: 7E600370
	v_max3_f32 v48, v112, v113, v48                            // 000000028688: D1D30030 04C2E370
	v_max3_f32 v48, v114, v115, v48                            // 000000028690: D1D30030 04C2E772
	v_max3_f32 v48, v116, v117, v48                            // 000000028698: D1D30030 04C2EB74
	v_max3_f32 v48, v118, v119, v48                            // 0000000286A0: D1D30030 04C2EF76
	v_max3_f32 v48, v120, v121, v48                            // 0000000286A8: D1D30030 04C2F378
	v_max3_f32 v48, v122, v123, v48                            // 0000000286B0: D1D30030 04C2F77A
	v_max3_f32 v48, v124, v125, v48                            // 0000000286B8: D1D30030 04C2FB7C
	v_max3_f32 v48, v126, v127, v48                            // 0000000286C0: D1D30030 04C2FF7E
	ds_write_b32 v8, v48 offset:16896                          // 0000000286C8: D81A4200 00003008
	v_mul_u32_u24_dpp v64, v17, v54 row_newbcast:1 row_mask:0xf bank_mask:0xf// 0000000286D0: 10806CFA FF015111
	v_mul_u32_u24_dpp v65, v17, v54 row_newbcast:5 row_mask:0xf bank_mask:0xf// 0000000286D8: 10826CFA FF015511
	v_mul_u32_u24_dpp v66, v17, v54 row_newbcast:9 row_mask:0xf bank_mask:0xf// 0000000286E0: 10846CFA FF015911
	v_mul_u32_u24_dpp v67, v17, v54 row_newbcast:13 row_mask:0xf bank_mask:0xf// 0000000286E8: 10866CFA FF015D11
	v_add_u32_e32 v34, v64, v6                                 // 0000000286F0: 68440D40
	v_add_u32_e32 v35, v65, v6                                 // 0000000286F4: 68460D41
	v_add_u32_e32 v36, v66, v6                                 // 0000000286F8: 68480D42
	v_add_u32_e32 v37, v67, v6                                 // 0000000286FC: 684A0D43
	v_mul_f32_e32 v208, v49, v208                              // 000000028700: 0BA1A131
	v_mul_f32_e32 v209, v49, v209                              // 000000028704: 0BA3A331
	v_mul_f32_e32 v210, v49, v210                              // 000000028708: 0BA5A531
	v_mul_f32_e32 v211, v49, v211                              // 00000002870C: 0BA7A731
	v_mul_f32_e32 v212, v49, v212                              // 000000028710: 0BA9A931
	v_mul_f32_e32 v213, v49, v213                              // 000000028714: 0BABAB31
	v_mul_f32_e32 v214, v49, v214                              // 000000028718: 0BADAD31
	v_mul_f32_e32 v215, v49, v215                              // 00000002871C: 0BAFAF31
	s_waitcnt lgkmcnt(0)                                       // 000000028720: BF8CC07F
	s_barrier                                                  // 000000028724: BF8A0000
	ds_read_b32 v64, v7 offset:16896                           // 000000028728: D86C4200 40000007
	ds_read_b32 v65, v7 offset:16960                           // 000000028730: D86C4240 41000007
	ds_read_b32 v66, v7 offset:17024                           // 000000028738: D86C4280 42000007
	ds_read_b32 v67, v7 offset:17088                           // 000000028740: D86C42C0 43000007
	ds_read_b32 v68, v7 offset:17152                           // 000000028748: D86C4300 44000007
	ds_read_b32 v69, v7 offset:17216                           // 000000028750: D86C4340 45000007
	ds_read_b32 v70, v7 offset:17280                           // 000000028758: D86C4380 46000007
	ds_read_b32 v71, v7 offset:17344                           // 000000028760: D86C43C0 47000007
	ds_read_b32 v72, v7 offset:17408                           // 000000028768: D86C4400 48000007
	ds_read_b32 v73, v7 offset:17472                           // 000000028770: D86C4440 49000007
	ds_read_b32 v74, v7 offset:17536                           // 000000028778: D86C4480 4A000007
	ds_read_b32 v75, v7 offset:17600                           // 000000028780: D86C44C0 4B000007
	ds_read_b32 v76, v7 offset:17664                           // 000000028788: D86C4500 4C000007
	ds_read_b32 v77, v7 offset:17728                           // 000000028790: D86C4540 4D000007
	ds_read_b32 v78, v7 offset:17792                           // 000000028798: D86C4580 4E000007
	ds_read_b32 v79, v7 offset:17856                           // 0000000287A0: D86C45C0 4F000007
	v_mul_f32_e32 v176, v44, v176                              // 0000000287A8: 0B61612C
	v_mul_f32_e32 v177, v44, v177                              // 0000000287AC: 0B63632C
	v_mul_f32_e32 v178, v44, v178                              // 0000000287B0: 0B65652C
	v_mul_f32_e32 v179, v44, v179                              // 0000000287B4: 0B67672C
	v_mul_f32_e32 v180, v44, v180                              // 0000000287B8: 0B69692C
	v_mul_f32_e32 v181, v44, v181                              // 0000000287BC: 0B6B6B2C
	v_mul_f32_e32 v182, v44, v182                              // 0000000287C0: 0B6D6D2C
	v_mul_f32_e32 v183, v44, v183                              // 0000000287C4: 0B6F6F2C
	s_waitcnt lgkmcnt(0)                                       // 0000000287C8: BF8CC07F
	v_max3_f32 v48, v64, v65, v48                              // 0000000287CC: D1D30030 04C28340
	v_max3_f32 v48, v66, v67, v48                              // 0000000287D4: D1D30030 04C28742
	v_max3_f32 v48, v68, v69, v48                              // 0000000287DC: D1D30030 04C28B44
	v_max3_f32 v48, v70, v71, v48                              // 0000000287E4: D1D30030 04C28F46
	v_max3_f32 v48, v72, v73, v48                              // 0000000287EC: D1D30030 04C29348
	v_max3_f32 v48, v74, v75, v48                              // 0000000287F4: D1D30030 04C2974A
	v_max3_f32 v48, v76, v77, v48                              // 0000000287FC: D1D30030 04C29B4C
	v_max3_f32 v48, v78, v79, v48                              // 000000028804: D1D30030 04C29F4E
	v_mov_b32_e32 v64, 0xff800000                              // 00000002880C: 7E8002FF FF800000
	v_cmp_eq_u32_e64 s[40:41], v64, v11                        // 000000028814: D0CA0028 00021740
	s_nop 1                                                    // 00000002881C: BF800001
	v_max_f32_e32 v15, v48, v11                                // 000000028820: 161E1730
	v_mul_f32_e32 v53, s64, v15                                // 000000028824: 0A6A1E40
	v_fma_f32 v112, v112, s64, -v53                            // 000000028828: D1CB0070 84D48170
	v_fma_f32 v113, v113, s64, -v53                            // 000000028830: D1CB0071 84D48171
	v_fma_f32 v114, v114, s64, -v53                            // 000000028838: D1CB0072 84D48172
	v_fma_f32 v115, v115, s64, -v53                            // 000000028840: D1CB0073 84D48173
	v_fma_f32 v116, v116, s64, -v53                            // 000000028848: D1CB0074 84D48174
	v_fma_f32 v117, v117, s64, -v53                            // 000000028850: D1CB0075 84D48175
	v_fma_f32 v118, v118, s64, -v53                            // 000000028858: D1CB0076 84D48176
	v_fma_f32 v119, v119, s64, -v53                            // 000000028860: D1CB0077 84D48177
	v_fma_f32 v120, v120, s64, -v53                            // 000000028868: D1CB0078 84D48178
	v_fma_f32 v121, v121, s64, -v53                            // 000000028870: D1CB0079 84D48179
	v_fma_f32 v122, v122, s64, -v53                            // 000000028878: D1CB007A 84D4817A
	v_fma_f32 v123, v123, s64, -v53                            // 000000028880: D1CB007B 84D4817B
	v_fma_f32 v124, v124, s64, -v53                            // 000000028888: D1CB007C 84D4817C
	v_fma_f32 v125, v125, s64, -v53                            // 000000028890: D1CB007D 84D4817D
	v_fma_f32 v126, v126, s64, -v53                            // 000000028898: D1CB007E 84D4817E
	v_fma_f32 v127, v127, s64, -v53                            // 0000000288A0: D1CB007F 84D4817F
	v_exp_f32_e32 v112, v112                                   // 0000000288A8: 7EE04170
	v_exp_f32_e32 v113, v113                                   // 0000000288AC: 7EE24171
	v_exp_f32_e32 v114, v114                                   // 0000000288B0: 7EE44172
	v_exp_f32_e32 v115, v115                                   // 0000000288B4: 7EE64173
	v_exp_f32_e32 v116, v116                                   // 0000000288B8: 7EE84174
	v_exp_f32_e32 v117, v117                                   // 0000000288BC: 7EEA4175
	v_exp_f32_e32 v118, v118                                   // 0000000288C0: 7EEC4176
	v_exp_f32_e32 v119, v119                                   // 0000000288C4: 7EEE4177
	v_exp_f32_e32 v120, v120                                   // 0000000288C8: 7EF04178
	v_exp_f32_e32 v121, v121                                   // 0000000288CC: 7EF24179
	v_exp_f32_e32 v122, v122                                   // 0000000288D0: 7EF4417A
	v_exp_f32_e32 v123, v123                                   // 0000000288D4: 7EF6417B
	v_exp_f32_e32 v124, v124                                   // 0000000288D8: 7EF8417C
	v_exp_f32_e32 v125, v125                                   // 0000000288DC: 7EFA417D
	v_exp_f32_e32 v126, v126                                   // 0000000288E0: 7EFC417E
	v_exp_f32_e32 v127, v127                                   // 0000000288E4: 7EFE417F
	v_mul_f32_dpp v240, v252, v112 quad_perm:[0,0,0,0] row_mask:0xf bank_mask:0xf// 0000000288E8: 0BE0E0FA FF0000FC
	v_mul_f32_dpp v241, v252, v113 quad_perm:[1,1,1,1] row_mask:0xf bank_mask:0xf// 0000000288F0: 0BE2E2FA FF0055FC
	v_mul_f32_dpp v242, v252, v114 quad_perm:[2,2,2,2] row_mask:0xf bank_mask:0xf// 0000000288F8: 0BE4E4FA FF00AAFC
	v_mul_f32_dpp v243, v252, v115 quad_perm:[3,3,3,3] row_mask:0xf bank_mask:0xf// 000000028900: 0BE6E6FA FF00FFFC
	v_mul_f32_dpp v244, v253, v116 quad_perm:[0,0,0,0] row_mask:0xf bank_mask:0xf// 000000028908: 0BE8E8FA FF0000FD
	v_mul_f32_dpp v245, v253, v117 quad_perm:[1,1,1,1] row_mask:0xf bank_mask:0xf// 000000028910: 0BEAEAFA FF0055FD
	v_mul_f32_dpp v246, v253, v118 quad_perm:[2,2,2,2] row_mask:0xf bank_mask:0xf// 000000028918: 0BECECFA FF00AAFD
	v_mul_f32_dpp v247, v253, v119 quad_perm:[3,3,3,3] row_mask:0xf bank_mask:0xf// 000000028920: 0BEEEEFA FF00FFFD
	v_mul_f32_dpp v248, v254, v120 quad_perm:[0,0,0,0] row_mask:0xf bank_mask:0xf// 000000028928: 0BF0F0FA FF0000FE
	v_mul_f32_dpp v249, v254, v121 quad_perm:[1,1,1,1] row_mask:0xf bank_mask:0xf// 000000028930: 0BF2F2FA FF0055FE
	v_mul_f32_dpp v250, v254, v122 quad_perm:[2,2,2,2] row_mask:0xf bank_mask:0xf// 000000028938: 0BF4F4FA FF00AAFE
	v_mul_f32_dpp v251, v254, v123 quad_perm:[3,3,3,3] row_mask:0xf bank_mask:0xf// 000000028940: 0BF6F6FA FF00FFFE
	v_mul_f32_dpp v252, v255, v124 quad_perm:[0,0,0,0] row_mask:0xf bank_mask:0xf// 000000028948: 0BF8F8FA FF0000FF
	v_mul_f32_dpp v253, v255, v125 quad_perm:[1,1,1,1] row_mask:0xf bank_mask:0xf// 000000028950: 0BFAFAFA FF0055FF
	v_mul_f32_dpp v254, v255, v126 quad_perm:[2,2,2,2] row_mask:0xf bank_mask:0xf// 000000028958: 0BFCFCFA FF00AAFF
	v_mul_f32_dpp v255, v255, v127 quad_perm:[3,3,3,3] row_mask:0xf bank_mask:0xf// 000000028960: 0BFEFEFA FF00FFFF
	v_mov_b32_e32 v48, 0x358637bd                              // 000000028968: 7E6002FF 358637BD
	v_max3_f32 v48, |v240|, |v241|, v48                        // 000000028970: D1D30330 04C3E3F0
	v_max3_f32 v48, |v242|, |v243|, v48                        // 000000028978: D1D30330 04C3E7F2
	v_max3_f32 v48, |v244|, |v245|, v48                        // 000000028980: D1D30330 04C3EBF4
	v_max3_f32 v48, |v246|, |v247|, v48                        // 000000028988: D1D30330 04C3EFF6
	v_max3_f32 v48, |v248|, |v249|, v48                        // 000000028990: D1D30330 04C3F3F8
	v_max3_f32 v48, |v250|, |v251|, v48                        // 000000028998: D1D30330 04C3F7FA
	v_max3_f32 v48, |v252|, |v253|, v48                        // 0000000289A0: D1D30330 04C3FBFC
	v_max3_f32 v48, |v254|, |v255|, v48                        // 0000000289A8: D1D30330 04C3FFFE
	ds_write_b32 v8, v48 offset:20992                          // 0000000289B0: D81A5200 00003008
	v_sub_f32_e32 v49, v11, v15                                // 0000000289B8: 04621F0B
	v_cndmask_b32_e64 v49, v49, 0, s[40:41]                    // 0000000289BC: D1000031 00A10131
	v_mov_b32_e32 v11, v15                                     // 0000000289C4: 7E16030F
	v_mul_f32_e32 v49, s64, v49                                // 0000000289C8: 0A626240
	v_exp_f32_e32 v49, v49                                     // 0000000289CC: 7E624131
	s_waitcnt lgkmcnt(0)                                       // 0000000289D0: BF8CC07F
	s_barrier                                                  // 0000000289D4: BF8A0000
	ds_read_b32 v64, v7 offset:20992                           // 0000000289D8: D86C5200 40000007
	ds_read_b32 v65, v7 offset:21056                           // 0000000289E0: D86C5240 41000007
	ds_read_b32 v66, v7 offset:21120                           // 0000000289E8: D86C5280 42000007
	ds_read_b32 v67, v7 offset:21184                           // 0000000289F0: D86C52C0 43000007
	ds_read_b32 v68, v7 offset:21248                           // 0000000289F8: D86C5300 44000007
	ds_read_b32 v69, v7 offset:21312                           // 000000028A00: D86C5340 45000007
	ds_read_b32 v70, v7 offset:21376                           // 000000028A08: D86C5380 46000007
	ds_read_b32 v71, v7 offset:21440                           // 000000028A10: D86C53C0 47000007
	ds_read_b32 v72, v7 offset:21504                           // 000000028A18: D86C5400 48000007
	ds_read_b32 v73, v7 offset:21568                           // 000000028A20: D86C5440 49000007
	ds_read_b32 v74, v7 offset:21632                           // 000000028A28: D86C5480 4A000007
	ds_read_b32 v75, v7 offset:21696                           // 000000028A30: D86C54C0 4B000007
	ds_read_b32 v76, v7 offset:21760                           // 000000028A38: D86C5500 4C000007
	ds_read_b32 v77, v7 offset:21824                           // 000000028A40: D86C5540 4D000007
	ds_read_b32 v78, v7 offset:21888                           // 000000028A48: D86C5580 4E000007
	ds_read_b32 v79, v7 offset:21952                           // 000000028A50: D86C55C0 4F000007
	v_mul_f32_e32 v38, v49, v38                                // 000000028A58: 0A4C4D31
	v_mov_b32_e32 v15, v112                                    // 000000028A5C: 7E1E0370
	v_add_f32_e32 v15, v113, v15                               // 000000028A60: 021E1F71
	v_add_f32_e32 v15, v114, v15                               // 000000028A64: 021E1F72
	v_add_f32_e32 v15, v115, v15                               // 000000028A68: 021E1F73
	v_add_f32_e32 v15, v116, v15                               // 000000028A6C: 021E1F74
	v_add_f32_e32 v15, v117, v15                               // 000000028A70: 021E1F75
	v_add_f32_e32 v15, v118, v15                               // 000000028A74: 021E1F76
	v_add_f32_e32 v15, v119, v15                               // 000000028A78: 021E1F77
	v_add_f32_e32 v15, v120, v15                               // 000000028A7C: 021E1F78
	v_add_f32_e32 v15, v121, v15                               // 000000028A80: 021E1F79
	v_add_f32_e32 v15, v122, v15                               // 000000028A84: 021E1F7A
	v_add_f32_e32 v15, v123, v15                               // 000000028A88: 021E1F7B
	v_add_f32_e32 v15, v124, v15                               // 000000028A8C: 021E1F7C
	v_add_f32_e32 v15, v125, v15                               // 000000028A90: 021E1F7D
	v_add_f32_e32 v15, v126, v15                               // 000000028A94: 021E1F7E
	v_add_f32_e32 v15, v127, v15                               // 000000028A98: 021E1F7F
	v_add_f32_e32 v38, v15, v38                                // 000000028A9C: 024C4D0F
	s_waitcnt lgkmcnt(0)                                       // 000000028AA0: BF8CC07F
	v_max3_f32 v48, |v64|, |v65|, v48                          // 000000028AA4: D1D30330 04C28340
	v_max3_f32 v48, |v66|, |v67|, v48                          // 000000028AAC: D1D30330 04C28742
	v_max3_f32 v48, |v68|, |v69|, v48                          // 000000028AB4: D1D30330 04C28B44
	v_max3_f32 v48, |v70|, |v71|, v48                          // 000000028ABC: D1D30330 04C28F46
	v_max3_f32 v48, |v72|, |v73|, v48                          // 000000028AC4: D1D30330 04C29348
	v_max3_f32 v48, |v74|, |v75|, v48                          // 000000028ACC: D1D30330 04C2974A
	v_max3_f32 v48, |v76|, |v77|, v48                          // 000000028AD4: D1D30330 04C29B4C
	v_max3_f32 v48, |v78|, |v79|, v48                          // 000000028ADC: D1D30330 04C29F4E
	s_nop 2                                                    // 000000028AE4: BF800002
	v_rcp_f32_e32 v48, v48                                     // 000000028AE8: 7E604530
	s_nop 1                                                    // 000000028AEC: BF800001
	v_mul_f32_e32 v48, 0x43e00000, v48                         // 000000028AF0: 0A6060FF 43E00000
	v_mul_f32_e32 v112, v48, v240                              // 000000028AF8: 0AE1E130
	v_mul_f32_e32 v113, v48, v241                              // 000000028AFC: 0AE3E330
	v_mul_f32_e32 v114, v48, v242                              // 000000028B00: 0AE5E530
	v_mul_f32_e32 v115, v48, v243                              // 000000028B04: 0AE7E730
	v_mul_f32_e32 v116, v48, v244                              // 000000028B08: 0AE9E930
	v_mul_f32_e32 v117, v48, v245                              // 000000028B0C: 0AEBEB30
	v_mul_f32_e32 v118, v48, v246                              // 000000028B10: 0AEDED30
	v_mul_f32_e32 v119, v48, v247                              // 000000028B14: 0AEFEF30
	v_mul_f32_e32 v120, v48, v248                              // 000000028B18: 0AF1F130
	v_mul_f32_e32 v121, v48, v249                              // 000000028B1C: 0AF3F330
	v_mul_f32_e32 v122, v48, v250                              // 000000028B20: 0AF5F530
	v_mul_f32_e32 v123, v48, v251                              // 000000028B24: 0AF7F730
	v_mul_f32_e32 v124, v48, v252                              // 000000028B28: 0AF9F930
	v_mul_f32_e32 v125, v48, v253                              // 000000028B2C: 0AFBFB30
	v_mul_f32_e32 v126, v48, v254                              // 000000028B30: 0AFDFD30
	v_mul_f32_e32 v127, v48, v255                              // 000000028B34: 0AFFFF30
	v_cvt_pk_fp8_f32 v112, v112, v113                          // 000000028B38: D2A20070 0002E370
	v_cvt_pk_fp8_f32 v112, v114, v115 op_sel:[0,0,1]           // 000000028B40: D2A24070 0002E772
	v_cvt_pk_fp8_f32 v113, v116, v117                          // 000000028B48: D2A20071 0002EB74
	v_cvt_pk_fp8_f32 v113, v118, v119 op_sel:[0,0,1]           // 000000028B50: D2A24071 0002EF76
	v_cvt_pk_fp8_f32 v114, v120, v121                          // 000000028B58: D2A20072 0002F378
	v_cvt_pk_fp8_f32 v114, v122, v123 op_sel:[0,0,1]           // 000000028B60: D2A24072 0002F77A
	v_cvt_pk_fp8_f32 v115, v124, v125                          // 000000028B68: D2A20073 0002FB7C
	v_cvt_pk_fp8_f32 v115, v126, v127 op_sel:[0,0,1]           // 000000028B70: D2A24073 0002FF7E
	ds_write_b32 v10, v112 offset:25088                        // 000000028B78: D81A6200 0000700A
	ds_write_b32 v10, v113 offset:26112                        // 000000028B80: D81A6600 0000710A
	ds_write_b32 v10, v114 offset:27136                        // 000000028B88: D81A6A00 0000720A
	ds_write_b32 v10, v115 offset:28160                        // 000000028B90: D81A6E00 0000730A
	v_add_f32_e32 v208, v208, v176                             // 000000028B98: 03A161D0
	v_add_f32_e32 v209, v209, v177                             // 000000028B9C: 03A363D1
	v_add_f32_e32 v210, v210, v178                             // 000000028BA0: 03A565D2
	v_add_f32_e32 v211, v211, v179                             // 000000028BA4: 03A767D3
	v_add_f32_e32 v212, v212, v180                             // 000000028BA8: 03A969D4
	v_add_f32_e32 v213, v213, v181                             // 000000028BAC: 03AB6BD5
	v_add_f32_e32 v214, v214, v182                             // 000000028BB0: 03AD6DD6
	v_add_f32_e32 v215, v215, v183                             // 000000028BB4: 03AF6FD7
	v_rcp_f32_e32 v44, v48                                     // 000000028BB8: 7E584530
	s_waitcnt lgkmcnt(0)                                       // 000000028BBC: BF8CC07F
	s_barrier                                                  // 000000028BC0: BF8A0000
	ds_read_b64 v[112:113], v9 offset:25088                    // 000000028BC4: D8EC6200 70000009
	ds_read_b64 v[114:115], v9 offset:25216                    // 000000028BCC: D8EC6280 72000009
	ds_read_b64 v[116:117], v9 offset:26112                    // 000000028BD4: D8EC6600 74000009
	ds_read_b64 v[118:119], v9 offset:26240                    // 000000028BDC: D8EC6680 76000009
	ds_read_b64 v[120:121], v9 offset:27136                    // 000000028BE4: D8EC6A00 78000009
	ds_read_b64 v[122:123], v9 offset:27264                    // 000000028BEC: D8EC6A80 7A000009
	ds_read_b64 v[124:125], v9 offset:28160                    // 000000028BF4: D8EC6E00 7C000009
	ds_read_b64 v[126:127], v9 offset:28288                    // 000000028BFC: D8EC6E80 7E000009
	v_mov_b32_dpp v64, v42 row_shr:4 row_mask:0xf bank_mask:0xf// 000000028C04: 7E8002FA FF01142A
	v_mov_b32_dpp v65, v42 row_shl:4 row_mask:0xf bank_mask:0xf// 000000028C0C: 7E8202FA FF01042A
	v_cndmask_b32_e64 v248, v42, v64, s[44:45]                 // 000000028C14: D10000F8 00B2812A
	v_cndmask_b32_e64 v249, v65, v42, s[44:45]                 // 000000028C1C: D10000F9 00B25541
	v_mov_b32_dpp v64, v248 row_shr:8 row_mask:0xf bank_mask:0xf// 000000028C24: 7E8002FA FF0118F8
	v_mov_b32_dpp v65, v248 row_shl:8 row_mask:0xf bank_mask:0xf// 000000028C2C: 7E8202FA FF0108F8
	v_mov_b32_dpp v66, v249 row_shr:8 row_mask:0xf bank_mask:0xf// 000000028C34: 7E8402FA FF0118F9
	v_mov_b32_dpp v67, v249 row_shl:8 row_mask:0xf bank_mask:0xf// 000000028C3C: 7E8602FA FF0108F9
	v_mov_b32_e32 v68, v248                                    // 000000028C44: 7E8803F8
	v_mov_b32_e32 v69, v249                                    // 000000028C48: 7E8A03F9
	v_cndmask_b32_e64 v248, v68, v64, s[42:43]                 // 000000028C4C: D10000F8 00AA8144
	v_cndmask_b32_e64 v250, v68, v65, s[78:79]                 // 000000028C54: D10000FA 013A8344
	v_cndmask_b32_e64 v249, v69, v66, s[42:43]                 // 000000028C5C: D10000F9 00AA8545
	v_cndmask_b32_e64 v251, v69, v67, s[78:79]                 // 000000028C64: D10000FB 013A8745
	v_mov_b32_dpp v64, v57 row_shr:4 row_mask:0xf bank_mask:0xf// 000000028C6C: 7E8002FA FF011439
	v_mov_b32_dpp v65, v57 row_shl:4 row_mask:0xf bank_mask:0xf// 000000028C74: 7E8202FA FF010439
	v_cndmask_b32_e64 v252, v57, v64, s[44:45]                 // 000000028C7C: D10000FC 00B28139
	v_cndmask_b32_e64 v253, v65, v57, s[44:45]                 // 000000028C84: D10000FD 00B27341
	v_mov_b32_dpp v64, v252 row_shr:8 row_mask:0xf bank_mask:0xf// 000000028C8C: 7E8002FA FF0118FC
	v_mov_b32_dpp v65, v252 row_shl:8 row_mask:0xf bank_mask:0xf// 000000028C94: 7E8202FA FF0108FC
	v_mov_b32_dpp v66, v253 row_shr:8 row_mask:0xf bank_mask:0xf// 000000028C9C: 7E8402FA FF0118FD
	v_mov_b32_dpp v67, v253 row_shl:8 row_mask:0xf bank_mask:0xf// 000000028CA4: 7E8602FA FF0108FD
	v_mov_b32_e32 v68, v252                                    // 000000028CAC: 7E8803FC
	v_mov_b32_e32 v69, v253                                    // 000000028CB0: 7E8A03FD
	v_cndmask_b32_e64 v252, v68, v64, s[42:43]                 // 000000028CB4: D10000FC 00AA8144
	v_cndmask_b32_e64 v254, v68, v65, s[78:79]                 // 000000028CBC: D10000FE 013A8344
	v_cndmask_b32_e64 v253, v69, v66, s[42:43]                 // 000000028CC4: D10000FD 00AA8545
	v_cndmask_b32_e64 v255, v69, v67, s[78:79]                 // 000000028CCC: D10000FF 013A8745
	v_mul_f32_e32 v128, v19, v128                              // 000000028CD4: 0B010113
	v_mul_f32_e32 v129, v19, v129                              // 000000028CD8: 0B030313
	v_mul_f32_e32 v130, v19, v130                              // 000000028CDC: 0B050513
	v_mul_f32_e32 v131, v19, v131                              // 000000028CE0: 0B070713
	v_mul_f32_e32 v132, v19, v132                              // 000000028CE4: 0B090913
	v_mul_f32_e32 v133, v19, v133                              // 000000028CE8: 0B0B0B13
	v_mul_f32_e32 v134, v19, v134                              // 000000028CEC: 0B0D0D13
	v_mul_f32_e32 v135, v19, v135                              // 000000028CF0: 0B0F0F13
	v_mul_f32_e32 v136, v19, v136                              // 000000028CF4: 0B111113
	v_mul_f32_e32 v137, v19, v137                              // 000000028CF8: 0B131313
	v_mul_f32_e32 v138, v19, v138                              // 000000028CFC: 0B151513
	v_mul_f32_e32 v139, v19, v139                              // 000000028D00: 0B171713
	v_mul_f32_e32 v140, v19, v140                              // 000000028D04: 0B191913
	v_mul_f32_e32 v141, v19, v141                              // 000000028D08: 0B1B1B13
	v_mul_f32_e32 v142, v19, v142                              // 000000028D0C: 0B1D1D13
	v_mul_f32_e32 v143, v19, v143                              // 000000028D10: 0B1F1F13
	v_mul_f32_dpp v128, v248, v128 quad_perm:[0,0,0,0] row_mask:0xf bank_mask:0xf// 000000028D14: 0B0100FA FF0000F8
	v_mul_f32_dpp v129, v248, v129 quad_perm:[1,1,1,1] row_mask:0xf bank_mask:0xf// 000000028D1C: 0B0302FA FF0055F8
	v_mul_f32_dpp v130, v248, v130 quad_perm:[2,2,2,2] row_mask:0xf bank_mask:0xf// 000000028D24: 0B0504FA FF00AAF8
	v_mul_f32_dpp v131, v248, v131 quad_perm:[3,3,3,3] row_mask:0xf bank_mask:0xf// 000000028D2C: 0B0706FA FF00FFF8
	v_mul_f32_dpp v132, v249, v132 quad_perm:[0,0,0,0] row_mask:0xf bank_mask:0xf// 000000028D34: 0B0908FA FF0000F9
	v_mul_f32_dpp v133, v249, v133 quad_perm:[1,1,1,1] row_mask:0xf bank_mask:0xf// 000000028D3C: 0B0B0AFA FF0055F9
	v_mul_f32_dpp v134, v249, v134 quad_perm:[2,2,2,2] row_mask:0xf bank_mask:0xf// 000000028D44: 0B0D0CFA FF00AAF9
	v_mul_f32_dpp v135, v249, v135 quad_perm:[3,3,3,3] row_mask:0xf bank_mask:0xf// 000000028D4C: 0B0F0EFA FF00FFF9
	v_mul_f32_dpp v136, v250, v136 quad_perm:[0,0,0,0] row_mask:0xf bank_mask:0xf// 000000028D54: 0B1110FA FF0000FA
	v_mul_f32_dpp v137, v250, v137 quad_perm:[1,1,1,1] row_mask:0xf bank_mask:0xf// 000000028D5C: 0B1312FA FF0055FA
	v_mul_f32_dpp v138, v250, v138 quad_perm:[2,2,2,2] row_mask:0xf bank_mask:0xf// 000000028D64: 0B1514FA FF00AAFA
	v_mul_f32_dpp v139, v250, v139 quad_perm:[3,3,3,3] row_mask:0xf bank_mask:0xf// 000000028D6C: 0B1716FA FF00FFFA
	v_mul_f32_dpp v140, v251, v140 quad_perm:[0,0,0,0] row_mask:0xf bank_mask:0xf// 000000028D74: 0B1918FA FF0000FB
	v_mul_f32_dpp v141, v251, v141 quad_perm:[1,1,1,1] row_mask:0xf bank_mask:0xf// 000000028D7C: 0B1B1AFA FF0055FB
	v_mul_f32_dpp v142, v251, v142 quad_perm:[2,2,2,2] row_mask:0xf bank_mask:0xf// 000000028D84: 0B1D1CFA FF00AAFB
	v_mul_f32_dpp v143, v251, v143 quad_perm:[3,3,3,3] row_mask:0xf bank_mask:0xf// 000000028D8C: 0B1F1EFA FF00FFFB
	s_cmp_le_i32 s90, s89                                      // 000000028D94: BF05595A
	s_cbranch_scc1 label_9B58                                  // 000000028D98: BF850071
	v_mov_b32_e32 v66, 0xff800000                              // 000000028D9C: 7E8402FF FF800000
	s_mov_b32 s60, s90                                         // 000000028DA4: BEBC005A
	s_add_u32 s61, s89, 0xff                                   // 000000028DA8: 803DFF59 000000FF
	v_mov_b32_e32 v64, s61                                     // 000000028DB0: 7E80023D
	v_lshrrev_b32_e32 v240, 4, v0                              // 000000028DB4: 21E00084
	v_mul_i32_i24_e32 v240, 4, v240                            // 000000028DB8: 0DE1E084
	v_add_u32_e32 v240, s60, v240                              // 000000028DBC: 69E1E03C
	s_mov_b32 s61, 1                                           // 000000028DC0: BEBD0081
	s_mul_i32 s60, 16, s7                                      // 000000028DC4: 923C0790
	v_sub_u32_e64 v240, v240, s61                              // 000000028DC8: D13500F0 00007BF0
	v_add_u32_e32 v240, s60, v240                              // 000000028DD0: 69E1E03C
	v_add_u32_e32 v241, 1, v240                                // 000000028DD4: 69E3E081
	v_add_u32_e32 v242, 2, v240                                // 000000028DD8: 69E5E082
	v_add_u32_e32 v243, 3, v240                                // 000000028DDC: 69E7E083
	v_cmp_le_u32_e64 s[40:41], v240, v64                       // 000000028DE0: D0CB0028 000281F0
	v_add_u32_e32 v240, 64, v240                               // 000000028DE8: 69E1E0C0
	s_nop 0                                                    // 000000028DEC: BF800000
	v_cndmask_b32_e64 v128, v66, v128, s[40:41]                // 000000028DF0: D1000080 00A30142
	v_cmp_le_u32_e64 s[40:41], v241, v64                       // 000000028DF8: D0CB0028 000281F1
	v_add_u32_e32 v241, 64, v241                               // 000000028E00: 69E3E2C0
	s_nop 0                                                    // 000000028E04: BF800000
	v_cndmask_b32_e64 v129, v66, v129, s[40:41]                // 000000028E08: D1000081 00A30342
	v_cmp_le_u32_e64 s[40:41], v242, v64                       // 000000028E10: D0CB0028 000281F2
	v_add_u32_e32 v242, 64, v242                               // 000000028E18: 69E5E4C0
	s_nop 0                                                    // 000000028E1C: BF800000
	v_cndmask_b32_e64 v130, v66, v130, s[40:41]                // 000000028E20: D1000082 00A30542
	v_cmp_le_u32_e64 s[40:41], v243, v64                       // 000000028E28: D0CB0028 000281F3
	v_add_u32_e32 v243, 64, v243                               // 000000028E30: 69E7E6C0
	s_nop 0                                                    // 000000028E34: BF800000
	v_cndmask_b32_e64 v131, v66, v131, s[40:41]                // 000000028E38: D1000083 00A30742
	v_cmp_le_u32_e64 s[40:41], v240, v64                       // 000000028E40: D0CB0028 000281F0
	v_add_u32_e32 v240, 64, v240                               // 000000028E48: 69E1E0C0
	s_nop 0                                                    // 000000028E4C: BF800000
	v_cndmask_b32_e64 v132, v66, v132, s[40:41]                // 000000028E50: D1000084 00A30942
	v_cmp_le_u32_e64 s[40:41], v241, v64                       // 000000028E58: D0CB0028 000281F1
	v_add_u32_e32 v241, 64, v241                               // 000000028E60: 69E3E2C0
	s_nop 0                                                    // 000000028E64: BF800000
	v_cndmask_b32_e64 v133, v66, v133, s[40:41]                // 000000028E68: D1000085 00A30B42
	v_cmp_le_u32_e64 s[40:41], v242, v64                       // 000000028E70: D0CB0028 000281F2
	v_add_u32_e32 v242, 64, v242                               // 000000028E78: 69E5E4C0
	s_nop 0                                                    // 000000028E7C: BF800000
	v_cndmask_b32_e64 v134, v66, v134, s[40:41]                // 000000028E80: D1000086 00A30D42
	v_cmp_le_u32_e64 s[40:41], v243, v64                       // 000000028E88: D0CB0028 000281F3
	v_add_u32_e32 v243, 64, v243                               // 000000028E90: 69E7E6C0
	s_nop 0                                                    // 000000028E94: BF800000
	v_cndmask_b32_e64 v135, v66, v135, s[40:41]                // 000000028E98: D1000087 00A30F42
	v_cmp_le_u32_e64 s[40:41], v240, v64                       // 000000028EA0: D0CB0028 000281F0
	v_add_u32_e32 v240, 64, v240                               // 000000028EA8: 69E1E0C0
	s_nop 0                                                    // 000000028EAC: BF800000
	v_cndmask_b32_e64 v136, v66, v136, s[40:41]                // 000000028EB0: D1000088 00A31142
	v_cmp_le_u32_e64 s[40:41], v241, v64                       // 000000028EB8: D0CB0028 000281F1
	v_add_u32_e32 v241, 64, v241                               // 000000028EC0: 69E3E2C0
	s_nop 0                                                    // 000000028EC4: BF800000
	v_cndmask_b32_e64 v137, v66, v137, s[40:41]                // 000000028EC8: D1000089 00A31342
	v_cmp_le_u32_e64 s[40:41], v242, v64                       // 000000028ED0: D0CB0028 000281F2
	v_add_u32_e32 v242, 64, v242                               // 000000028ED8: 69E5E4C0
	s_nop 0                                                    // 000000028EDC: BF800000
	v_cndmask_b32_e64 v138, v66, v138, s[40:41]                // 000000028EE0: D100008A 00A31542
	v_cmp_le_u32_e64 s[40:41], v243, v64                       // 000000028EE8: D0CB0028 000281F3
	v_add_u32_e32 v243, 64, v243                               // 000000028EF0: 69E7E6C0
	s_nop 0                                                    // 000000028EF4: BF800000
	v_cndmask_b32_e64 v139, v66, v139, s[40:41]                // 000000028EF8: D100008B 00A31742
	v_cmp_le_u32_e64 s[40:41], v240, v64                       // 000000028F00: D0CB0028 000281F0
	v_add_u32_e32 v240, 64, v240                               // 000000028F08: 69E1E0C0
	s_nop 0                                                    // 000000028F0C: BF800000
	v_cndmask_b32_e64 v140, v66, v140, s[40:41]                // 000000028F10: D100008C 00A31942
	v_cmp_le_u32_e64 s[40:41], v241, v64                       // 000000028F18: D0CB0028 000281F1
	v_add_u32_e32 v241, 64, v241                               // 000000028F20: 69E3E2C0
	s_nop 0                                                    // 000000028F24: BF800000
	v_cndmask_b32_e64 v141, v66, v141, s[40:41]                // 000000028F28: D100008D 00A31B42
	v_cmp_le_u32_e64 s[40:41], v242, v64                       // 000000028F30: D0CB0028 000281F2
	v_add_u32_e32 v242, 64, v242                               // 000000028F38: 69E5E4C0
	s_nop 0                                                    // 000000028F3C: BF800000
	v_cndmask_b32_e64 v142, v66, v142, s[40:41]                // 000000028F40: D100008E 00A31D42
	v_cmp_le_u32_e64 s[40:41], v243, v64                       // 000000028F48: D0CB0028 000281F3
	v_add_u32_e32 v243, 64, v243                               // 000000028F50: 69E7E6C0
	s_nop 0                                                    // 000000028F54: BF800000
	v_cndmask_b32_e64 v143, v66, v143, s[40:41]                // 000000028F58: D100008F 00A31F42

0000000000028f60 <label_9B58>:
	s_and_b32 s60, s72, 0xff                                   // 000000028F60: 863CFF48 000000FF
	v_mov_b32_e32 v65, s60                                     // 000000028F68: 7E82023C
	v_lshrrev_b32_e32 v240, 4, v0                              // 000000028F6C: 21E00084
	v_mul_i32_i24_e32 v240, 4, v240                            // 000000028F70: 0DE1E084
	s_mul_i32 s60, s7, 16                                      // 000000028F74: 923C9007
	v_add_u32_e32 v240, s60, v240                              // 000000028F78: 69E1E03C
	v_add_u32_e32 v241, 1, v240                                // 000000028F7C: 69E3E081
	v_add_u32_e32 v242, 2, v240                                // 000000028F80: 69E5E082
	v_add_u32_e32 v243, 3, v240                                // 000000028F84: 69E7E083
	v_mov_b32_e32 v64, 0xff800000                              // 000000028F88: 7E8002FF FF800000
	v_cmp_lt_u32_e64 s[40:41], v240, v65                       // 000000028F90: D0C90028 000283F0
	v_add_u32_e32 v240, 64, v240                               // 000000028F98: 69E1E0C0
	s_nop 0                                                    // 000000028F9C: BF800000
	v_cndmask_b32_e64 v128, v64, v128, s[40:41]                // 000000028FA0: D1000080 00A30140
	v_cmp_lt_u32_e64 s[40:41], v241, v65                       // 000000028FA8: D0C90028 000283F1
	v_add_u32_e32 v241, 64, v241                               // 000000028FB0: 69E3E2C0
	s_nop 0                                                    // 000000028FB4: BF800000
	v_cndmask_b32_e64 v129, v64, v129, s[40:41]                // 000000028FB8: D1000081 00A30340
	v_cmp_lt_u32_e64 s[40:41], v242, v65                       // 000000028FC0: D0C90028 000283F2
	v_add_u32_e32 v242, 64, v242                               // 000000028FC8: 69E5E4C0
	s_nop 0                                                    // 000000028FCC: BF800000
	v_cndmask_b32_e64 v130, v64, v130, s[40:41]                // 000000028FD0: D1000082 00A30540
	v_cmp_lt_u32_e64 s[40:41], v243, v65                       // 000000028FD8: D0C90028 000283F3
	v_add_u32_e32 v243, 64, v243                               // 000000028FE0: 69E7E6C0
	s_nop 0                                                    // 000000028FE4: BF800000
	v_cndmask_b32_e64 v131, v64, v131, s[40:41]                // 000000028FE8: D1000083 00A30740
	v_cmp_lt_u32_e64 s[40:41], v240, v65                       // 000000028FF0: D0C90028 000283F0
	v_add_u32_e32 v240, 64, v240                               // 000000028FF8: 69E1E0C0
	s_nop 0                                                    // 000000028FFC: BF800000
	v_cndmask_b32_e64 v132, v64, v132, s[40:41]                // 000000029000: D1000084 00A30940
	v_cmp_lt_u32_e64 s[40:41], v241, v65                       // 000000029008: D0C90028 000283F1
	v_add_u32_e32 v241, 64, v241                               // 000000029010: 69E3E2C0
	s_nop 0                                                    // 000000029014: BF800000
	v_cndmask_b32_e64 v133, v64, v133, s[40:41]                // 000000029018: D1000085 00A30B40
	v_cmp_lt_u32_e64 s[40:41], v242, v65                       // 000000029020: D0C90028 000283F2
	v_add_u32_e32 v242, 64, v242                               // 000000029028: 69E5E4C0
	s_nop 0                                                    // 00000002902C: BF800000
	v_cndmask_b32_e64 v134, v64, v134, s[40:41]                // 000000029030: D1000086 00A30D40
	v_cmp_lt_u32_e64 s[40:41], v243, v65                       // 000000029038: D0C90028 000283F3
	v_add_u32_e32 v243, 64, v243                               // 000000029040: 69E7E6C0
	s_nop 0                                                    // 000000029044: BF800000
	v_cndmask_b32_e64 v135, v64, v135, s[40:41]                // 000000029048: D1000087 00A30F40
	v_cmp_lt_u32_e64 s[40:41], v240, v65                       // 000000029050: D0C90028 000283F0
	v_add_u32_e32 v240, 64, v240                               // 000000029058: 69E1E0C0
	s_nop 0                                                    // 00000002905C: BF800000
	v_cndmask_b32_e64 v136, v64, v136, s[40:41]                // 000000029060: D1000088 00A31140
	v_cmp_lt_u32_e64 s[40:41], v241, v65                       // 000000029068: D0C90028 000283F1
	v_add_u32_e32 v241, 64, v241                               // 000000029070: 69E3E2C0
	s_nop 0                                                    // 000000029074: BF800000
	v_cndmask_b32_e64 v137, v64, v137, s[40:41]                // 000000029078: D1000089 00A31340
	v_cmp_lt_u32_e64 s[40:41], v242, v65                       // 000000029080: D0C90028 000283F2
	v_add_u32_e32 v242, 64, v242                               // 000000029088: 69E5E4C0
	s_nop 0                                                    // 00000002908C: BF800000
	v_cndmask_b32_e64 v138, v64, v138, s[40:41]                // 000000029090: D100008A 00A31540
	v_cmp_lt_u32_e64 s[40:41], v243, v65                       // 000000029098: D0C90028 000283F3
	v_add_u32_e32 v243, 64, v243                               // 0000000290A0: 69E7E6C0
	s_nop 0                                                    // 0000000290A4: BF800000
	v_cndmask_b32_e64 v139, v64, v139, s[40:41]                // 0000000290A8: D100008B 00A31740
	v_cmp_lt_u32_e64 s[40:41], v240, v65                       // 0000000290B0: D0C90028 000283F0
	v_add_u32_e32 v240, 64, v240                               // 0000000290B8: 69E1E0C0
	s_nop 0                                                    // 0000000290BC: BF800000
	v_cndmask_b32_e64 v140, v64, v140, s[40:41]                // 0000000290C0: D100008C 00A31940
	v_cmp_lt_u32_e64 s[40:41], v241, v65                       // 0000000290C8: D0C90028 000283F1
	v_add_u32_e32 v241, 64, v241                               // 0000000290D0: 69E3E2C0
	s_nop 0                                                    // 0000000290D4: BF800000
	v_cndmask_b32_e64 v141, v64, v141, s[40:41]                // 0000000290D8: D100008D 00A31B40
	v_cmp_lt_u32_e64 s[40:41], v242, v65                       // 0000000290E0: D0C90028 000283F2
	v_add_u32_e32 v242, 64, v242                               // 0000000290E8: 69E5E4C0
	s_nop 0                                                    // 0000000290EC: BF800000
	v_cndmask_b32_e64 v142, v64, v142, s[40:41]                // 0000000290F0: D100008E 00A31D40
	v_cmp_lt_u32_e64 s[40:41], v243, v65                       // 0000000290F8: D0C90028 000283F3
	v_add_u32_e32 v243, 64, v243                               // 000000029100: 69E7E6C0
	s_nop 0                                                    // 000000029104: BF800000
	v_cndmask_b32_e64 v143, v64, v143, s[40:41]                // 000000029108: D100008F 00A31F40
	v_mov_b32_e32 v48, v128                                    // 000000029110: 7E600380
	v_max3_f32 v48, v128, v129, v48                            // 000000029114: D1D30030 04C30380
	v_max3_f32 v48, v130, v131, v48                            // 00000002911C: D1D30030 04C30782
	v_max3_f32 v48, v132, v133, v48                            // 000000029124: D1D30030 04C30B84
	v_max3_f32 v48, v134, v135, v48                            // 00000002912C: D1D30030 04C30F86
	v_max3_f32 v48, v136, v137, v48                            // 000000029134: D1D30030 04C31388
	v_max3_f32 v48, v138, v139, v48                            // 00000002913C: D1D30030 04C3178A
	v_max3_f32 v48, v140, v141, v48                            // 000000029144: D1D30030 04C31B8C
	v_max3_f32 v48, v142, v143, v48                            // 00000002914C: D1D30030 04C31F8E
	ds_write_b32 v8, v48 offset:16896                          // 000000029154: D81A4200 00003008
	v_mul_f32_e32 v216, v50, v216                              // 00000002915C: 0BB1B132
	v_mul_f32_e32 v217, v50, v217                              // 000000029160: 0BB3B332
	v_mul_f32_e32 v218, v50, v218                              // 000000029164: 0BB5B532
	v_mul_f32_e32 v219, v50, v219                              // 000000029168: 0BB7B732
	v_mul_f32_e32 v220, v50, v220                              // 00000002916C: 0BB9B932
	v_mul_f32_e32 v221, v50, v221                              // 000000029170: 0BBBBB32
	v_mul_f32_e32 v222, v50, v222                              // 000000029174: 0BBDBD32
	v_mul_f32_e32 v223, v50, v223                              // 000000029178: 0BBFBF32
	s_waitcnt lgkmcnt(0)                                       // 00000002917C: BF8CC07F
	s_barrier                                                  // 000000029180: BF8A0000
	ds_read_b32 v64, v7 offset:16896                           // 000000029184: D86C4200 40000007
	ds_read_b32 v65, v7 offset:16960                           // 00000002918C: D86C4240 41000007
	ds_read_b32 v66, v7 offset:17024                           // 000000029194: D86C4280 42000007
	ds_read_b32 v67, v7 offset:17088                           // 00000002919C: D86C42C0 43000007
	ds_read_b32 v68, v7 offset:17152                           // 0000000291A4: D86C4300 44000007
	ds_read_b32 v69, v7 offset:17216                           // 0000000291AC: D86C4340 45000007
	ds_read_b32 v70, v7 offset:17280                           // 0000000291B4: D86C4380 46000007
	ds_read_b32 v71, v7 offset:17344                           // 0000000291BC: D86C43C0 47000007
	ds_read_b32 v72, v7 offset:17408                           // 0000000291C4: D86C4400 48000007
	ds_read_b32 v73, v7 offset:17472                           // 0000000291CC: D86C4440 49000007
	ds_read_b32 v74, v7 offset:17536                           // 0000000291D4: D86C4480 4A000007
	ds_read_b32 v75, v7 offset:17600                           // 0000000291DC: D86C44C0 4B000007
	ds_read_b32 v76, v7 offset:17664                           // 0000000291E4: D86C4500 4C000007
	ds_read_b32 v77, v7 offset:17728                           // 0000000291EC: D86C4540 4D000007
	ds_read_b32 v78, v7 offset:17792                           // 0000000291F4: D86C4580 4E000007
	ds_read_b32 v79, v7 offset:17856                           // 0000000291FC: D86C45C0 4F000007
	v_mul_f32_e32 v184, v45, v184                              // 000000029204: 0B71712D
	v_mul_f32_e32 v185, v45, v185                              // 000000029208: 0B73732D
	v_mul_f32_e32 v186, v45, v186                              // 00000002920C: 0B75752D
	v_mul_f32_e32 v187, v45, v187                              // 000000029210: 0B77772D
	v_mul_f32_e32 v188, v45, v188                              // 000000029214: 0B79792D
	v_mul_f32_e32 v189, v45, v189                              // 000000029218: 0B7B7B2D
	v_mul_f32_e32 v190, v45, v190                              // 00000002921C: 0B7D7D2D
	v_mul_f32_e32 v191, v45, v191                              // 000000029220: 0B7F7F2D
	s_waitcnt lgkmcnt(0)                                       // 000000029224: BF8CC07F
	v_max3_f32 v48, v64, v65, v48                              // 000000029228: D1D30030 04C28340
	v_max3_f32 v48, v66, v67, v48                              // 000000029230: D1D30030 04C28742
	v_max3_f32 v48, v68, v69, v48                              // 000000029238: D1D30030 04C28B44
	v_max3_f32 v48, v70, v71, v48                              // 000000029240: D1D30030 04C28F46
	v_max3_f32 v48, v72, v73, v48                              // 000000029248: D1D30030 04C29348
	v_max3_f32 v48, v74, v75, v48                              // 000000029250: D1D30030 04C2974A
	v_max3_f32 v48, v76, v77, v48                              // 000000029258: D1D30030 04C29B4C
	v_max3_f32 v48, v78, v79, v48                              // 000000029260: D1D30030 04C29F4E
	v_mov_b32_e32 v64, 0xff800000                              // 000000029268: 7E8002FF FF800000
	v_cmp_eq_u32_e64 s[40:41], v64, v12                        // 000000029270: D0CA0028 00021940
	s_nop 1                                                    // 000000029278: BF800001
	v_max_f32_e32 v15, v48, v12                                // 00000002927C: 161E1930
	v_mul_f32_e32 v53, s64, v15                                // 000000029280: 0A6A1E40
	v_fma_f32 v128, v128, s64, -v53                            // 000000029284: D1CB0080 84D48180
	v_fma_f32 v129, v129, s64, -v53                            // 00000002928C: D1CB0081 84D48181
	v_fma_f32 v130, v130, s64, -v53                            // 000000029294: D1CB0082 84D48182
	v_fma_f32 v131, v131, s64, -v53                            // 00000002929C: D1CB0083 84D48183
	v_fma_f32 v132, v132, s64, -v53                            // 0000000292A4: D1CB0084 84D48184
	v_fma_f32 v133, v133, s64, -v53                            // 0000000292AC: D1CB0085 84D48185
	v_fma_f32 v134, v134, s64, -v53                            // 0000000292B4: D1CB0086 84D48186
	v_fma_f32 v135, v135, s64, -v53                            // 0000000292BC: D1CB0087 84D48187
	v_fma_f32 v136, v136, s64, -v53                            // 0000000292C4: D1CB0088 84D48188
	v_fma_f32 v137, v137, s64, -v53                            // 0000000292CC: D1CB0089 84D48189
	v_fma_f32 v138, v138, s64, -v53                            // 0000000292D4: D1CB008A 84D4818A
	v_fma_f32 v139, v139, s64, -v53                            // 0000000292DC: D1CB008B 84D4818B
	v_fma_f32 v140, v140, s64, -v53                            // 0000000292E4: D1CB008C 84D4818C
	v_fma_f32 v141, v141, s64, -v53                            // 0000000292EC: D1CB008D 84D4818D
	v_fma_f32 v142, v142, s64, -v53                            // 0000000292F4: D1CB008E 84D4818E
	v_fma_f32 v143, v143, s64, -v53                            // 0000000292FC: D1CB008F 84D4818F
	v_exp_f32_e32 v128, v128                                   // 000000029304: 7F004180
	v_exp_f32_e32 v129, v129                                   // 000000029308: 7F024181
	v_exp_f32_e32 v130, v130                                   // 00000002930C: 7F044182
	v_exp_f32_e32 v131, v131                                   // 000000029310: 7F064183
	v_exp_f32_e32 v132, v132                                   // 000000029314: 7F084184
	v_exp_f32_e32 v133, v133                                   // 000000029318: 7F0A4185
	v_exp_f32_e32 v134, v134                                   // 00000002931C: 7F0C4186
	v_exp_f32_e32 v135, v135                                   // 000000029320: 7F0E4187
	v_exp_f32_e32 v136, v136                                   // 000000029324: 7F104188
	v_exp_f32_e32 v137, v137                                   // 000000029328: 7F124189
	v_exp_f32_e32 v138, v138                                   // 00000002932C: 7F14418A
	v_exp_f32_e32 v139, v139                                   // 000000029330: 7F16418B
	v_exp_f32_e32 v140, v140                                   // 000000029334: 7F18418C
	v_exp_f32_e32 v141, v141                                   // 000000029338: 7F1A418D
	v_exp_f32_e32 v142, v142                                   // 00000002933C: 7F1C418E
	v_exp_f32_e32 v143, v143                                   // 000000029340: 7F1E418F
	v_mul_f32_dpp v240, v252, v128 quad_perm:[0,0,0,0] row_mask:0xf bank_mask:0xf// 000000029344: 0BE100FA FF0000FC
	v_mul_f32_dpp v241, v252, v129 quad_perm:[1,1,1,1] row_mask:0xf bank_mask:0xf// 00000002934C: 0BE302FA FF0055FC
	v_mul_f32_dpp v242, v252, v130 quad_perm:[2,2,2,2] row_mask:0xf bank_mask:0xf// 000000029354: 0BE504FA FF00AAFC
	v_mul_f32_dpp v243, v252, v131 quad_perm:[3,3,3,3] row_mask:0xf bank_mask:0xf// 00000002935C: 0BE706FA FF00FFFC
	v_mul_f32_dpp v244, v253, v132 quad_perm:[0,0,0,0] row_mask:0xf bank_mask:0xf// 000000029364: 0BE908FA FF0000FD
	v_mul_f32_dpp v245, v253, v133 quad_perm:[1,1,1,1] row_mask:0xf bank_mask:0xf// 00000002936C: 0BEB0AFA FF0055FD
	v_mul_f32_dpp v246, v253, v134 quad_perm:[2,2,2,2] row_mask:0xf bank_mask:0xf// 000000029374: 0BED0CFA FF00AAFD
	v_mul_f32_dpp v247, v253, v135 quad_perm:[3,3,3,3] row_mask:0xf bank_mask:0xf// 00000002937C: 0BEF0EFA FF00FFFD
	v_mul_f32_dpp v248, v254, v136 quad_perm:[0,0,0,0] row_mask:0xf bank_mask:0xf// 000000029384: 0BF110FA FF0000FE
	v_mul_f32_dpp v249, v254, v137 quad_perm:[1,1,1,1] row_mask:0xf bank_mask:0xf// 00000002938C: 0BF312FA FF0055FE
	v_mul_f32_dpp v250, v254, v138 quad_perm:[2,2,2,2] row_mask:0xf bank_mask:0xf// 000000029394: 0BF514FA FF00AAFE
	v_mul_f32_dpp v251, v254, v139 quad_perm:[3,3,3,3] row_mask:0xf bank_mask:0xf// 00000002939C: 0BF716FA FF00FFFE
	v_mul_f32_dpp v252, v255, v140 quad_perm:[0,0,0,0] row_mask:0xf bank_mask:0xf// 0000000293A4: 0BF918FA FF0000FF
	v_mul_f32_dpp v253, v255, v141 quad_perm:[1,1,1,1] row_mask:0xf bank_mask:0xf// 0000000293AC: 0BFB1AFA FF0055FF
	v_mul_f32_dpp v254, v255, v142 quad_perm:[2,2,2,2] row_mask:0xf bank_mask:0xf// 0000000293B4: 0BFD1CFA FF00AAFF
	v_mul_f32_dpp v255, v255, v143 quad_perm:[3,3,3,3] row_mask:0xf bank_mask:0xf// 0000000293BC: 0BFF1EFA FF00FFFF
	v_mov_b32_e32 v48, 0x358637bd                              // 0000000293C4: 7E6002FF 358637BD
	v_max3_f32 v48, |v240|, |v241|, v48                        // 0000000293CC: D1D30330 04C3E3F0
	v_max3_f32 v48, |v242|, |v243|, v48                        // 0000000293D4: D1D30330 04C3E7F2
	v_max3_f32 v48, |v244|, |v245|, v48                        // 0000000293DC: D1D30330 04C3EBF4
	v_max3_f32 v48, |v246|, |v247|, v48                        // 0000000293E4: D1D30330 04C3EFF6
	v_max3_f32 v48, |v248|, |v249|, v48                        // 0000000293EC: D1D30330 04C3F3F8
	v_max3_f32 v48, |v250|, |v251|, v48                        // 0000000293F4: D1D30330 04C3F7FA
	v_max3_f32 v48, |v252|, |v253|, v48                        // 0000000293FC: D1D30330 04C3FBFC
	v_max3_f32 v48, |v254|, |v255|, v48                        // 000000029404: D1D30330 04C3FFFE
	ds_write_b32 v8, v48 offset:20992                          // 00000002940C: D81A5200 00003008
	v_sub_f32_e32 v50, v12, v15                                // 000000029414: 04641F0C
	v_cndmask_b32_e64 v50, v50, 0, s[40:41]                    // 000000029418: D1000032 00A10132
	v_mov_b32_e32 v12, v15                                     // 000000029420: 7E18030F
	v_mul_f32_e32 v50, s64, v50                                // 000000029424: 0A646440
	v_exp_f32_e32 v50, v50                                     // 000000029428: 7E644132
	s_waitcnt lgkmcnt(0)                                       // 00000002942C: BF8CC07F
	s_barrier                                                  // 000000029430: BF8A0000
	ds_read_b32 v64, v7 offset:20992                           // 000000029434: D86C5200 40000007
	ds_read_b32 v65, v7 offset:21056                           // 00000002943C: D86C5240 41000007
	ds_read_b32 v66, v7 offset:21120                           // 000000029444: D86C5280 42000007
	ds_read_b32 v67, v7 offset:21184                           // 00000002944C: D86C52C0 43000007
	ds_read_b32 v68, v7 offset:21248                           // 000000029454: D86C5300 44000007
	ds_read_b32 v69, v7 offset:21312                           // 00000002945C: D86C5340 45000007
	ds_read_b32 v70, v7 offset:21376                           // 000000029464: D86C5380 46000007
	ds_read_b32 v71, v7 offset:21440                           // 00000002946C: D86C53C0 47000007
	ds_read_b32 v72, v7 offset:21504                           // 000000029474: D86C5400 48000007
	ds_read_b32 v73, v7 offset:21568                           // 00000002947C: D86C5440 49000007
	ds_read_b32 v74, v7 offset:21632                           // 000000029484: D86C5480 4A000007
	ds_read_b32 v75, v7 offset:21696                           // 00000002948C: D86C54C0 4B000007
	ds_read_b32 v76, v7 offset:21760                           // 000000029494: D86C5500 4C000007
	ds_read_b32 v77, v7 offset:21824                           // 00000002949C: D86C5540 4D000007
	ds_read_b32 v78, v7 offset:21888                           // 0000000294A4: D86C5580 4E000007
	ds_read_b32 v79, v7 offset:21952                           // 0000000294AC: D86C55C0 4F000007
	v_mul_f32_e32 v39, v50, v39                                // 0000000294B4: 0A4E4F32
	v_mov_b32_e32 v15, v128                                    // 0000000294B8: 7E1E0380
	v_add_f32_e32 v15, v129, v15                               // 0000000294BC: 021E1F81
	v_add_f32_e32 v15, v130, v15                               // 0000000294C0: 021E1F82
	v_add_f32_e32 v15, v131, v15                               // 0000000294C4: 021E1F83
	v_add_f32_e32 v15, v132, v15                               // 0000000294C8: 021E1F84
	v_add_f32_e32 v15, v133, v15                               // 0000000294CC: 021E1F85
	v_add_f32_e32 v15, v134, v15                               // 0000000294D0: 021E1F86
	v_add_f32_e32 v15, v135, v15                               // 0000000294D4: 021E1F87
	v_add_f32_e32 v15, v136, v15                               // 0000000294D8: 021E1F88
	v_add_f32_e32 v15, v137, v15                               // 0000000294DC: 021E1F89
	v_add_f32_e32 v15, v138, v15                               // 0000000294E0: 021E1F8A
	v_add_f32_e32 v15, v139, v15                               // 0000000294E4: 021E1F8B
	v_add_f32_e32 v15, v140, v15                               // 0000000294E8: 021E1F8C
	v_add_f32_e32 v15, v141, v15                               // 0000000294EC: 021E1F8D
	v_add_f32_e32 v15, v142, v15                               // 0000000294F0: 021E1F8E
	v_add_f32_e32 v15, v143, v15                               // 0000000294F4: 021E1F8F
	v_add_f32_e32 v39, v15, v39                                // 0000000294F8: 024E4F0F
	s_waitcnt lgkmcnt(0)                                       // 0000000294FC: BF8CC07F
	v_max3_f32 v48, |v64|, |v65|, v48                          // 000000029500: D1D30330 04C28340
	v_max3_f32 v48, |v66|, |v67|, v48                          // 000000029508: D1D30330 04C28742
	v_max3_f32 v48, |v68|, |v69|, v48                          // 000000029510: D1D30330 04C28B44
	v_max3_f32 v48, |v70|, |v71|, v48                          // 000000029518: D1D30330 04C28F46
	v_max3_f32 v48, |v72|, |v73|, v48                          // 000000029520: D1D30330 04C29348
	v_max3_f32 v48, |v74|, |v75|, v48                          // 000000029528: D1D30330 04C2974A
	v_max3_f32 v48, |v76|, |v77|, v48                          // 000000029530: D1D30330 04C29B4C
	v_max3_f32 v48, |v78|, |v79|, v48                          // 000000029538: D1D30330 04C29F4E
	s_nop 2                                                    // 000000029540: BF800002
	v_rcp_f32_e32 v48, v48                                     // 000000029544: 7E604530
	s_nop 1                                                    // 000000029548: BF800001
	v_mul_f32_e32 v48, 0x43e00000, v48                         // 00000002954C: 0A6060FF 43E00000
	v_mul_f32_e32 v128, v48, v240                              // 000000029554: 0B01E130
	v_mul_f32_e32 v129, v48, v241                              // 000000029558: 0B03E330
	v_mul_f32_e32 v130, v48, v242                              // 00000002955C: 0B05E530
	v_mul_f32_e32 v131, v48, v243                              // 000000029560: 0B07E730
	v_mul_f32_e32 v132, v48, v244                              // 000000029564: 0B09E930
	v_mul_f32_e32 v133, v48, v245                              // 000000029568: 0B0BEB30
	v_mul_f32_e32 v134, v48, v246                              // 00000002956C: 0B0DED30
	v_mul_f32_e32 v135, v48, v247                              // 000000029570: 0B0FEF30
	v_mul_f32_e32 v136, v48, v248                              // 000000029574: 0B11F130
	v_mul_f32_e32 v137, v48, v249                              // 000000029578: 0B13F330
	v_mul_f32_e32 v138, v48, v250                              // 00000002957C: 0B15F530
	v_mul_f32_e32 v139, v48, v251                              // 000000029580: 0B17F730
	v_mul_f32_e32 v140, v48, v252                              // 000000029584: 0B19F930
	v_mul_f32_e32 v141, v48, v253                              // 000000029588: 0B1BFB30
	v_mul_f32_e32 v142, v48, v254                              // 00000002958C: 0B1DFD30
	v_mul_f32_e32 v143, v48, v255                              // 000000029590: 0B1FFF30
	v_cvt_pk_fp8_f32 v128, v128, v129                          // 000000029594: D2A20080 00030380
	v_cvt_pk_fp8_f32 v128, v130, v131 op_sel:[0,0,1]           // 00000002959C: D2A24080 00030782
	v_cvt_pk_fp8_f32 v129, v132, v133                          // 0000000295A4: D2A20081 00030B84
	v_cvt_pk_fp8_f32 v129, v134, v135 op_sel:[0,0,1]           // 0000000295AC: D2A24081 00030F86
	v_cvt_pk_fp8_f32 v130, v136, v137                          // 0000000295B4: D2A20082 00031388
	v_cvt_pk_fp8_f32 v130, v138, v139 op_sel:[0,0,1]           // 0000000295BC: D2A24082 0003178A
	v_cvt_pk_fp8_f32 v131, v140, v141                          // 0000000295C4: D2A20083 00031B8C
	v_cvt_pk_fp8_f32 v131, v142, v143 op_sel:[0,0,1]           // 0000000295CC: D2A24083 00031F8E
	ds_write_b32 v10, v128 offset:29184                        // 0000000295D4: D81A7200 0000800A
	ds_write_b32 v10, v129 offset:30208                        // 0000000295DC: D81A7600 0000810A
	ds_write_b32 v10, v130 offset:31232                        // 0000000295E4: D81A7A00 0000820A
	ds_write_b32 v10, v131 offset:32256                        // 0000000295EC: D81A7E00 0000830A
	v_add_f32_e32 v216, v216, v184                             // 0000000295F4: 03B171D8
	v_add_f32_e32 v217, v217, v185                             // 0000000295F8: 03B373D9
	v_add_f32_e32 v218, v218, v186                             // 0000000295FC: 03B575DA
	v_add_f32_e32 v219, v219, v187                             // 000000029600: 03B777DB
	v_add_f32_e32 v220, v220, v188                             // 000000029604: 03B979DC
	v_add_f32_e32 v221, v221, v189                             // 000000029608: 03BB7BDD
	v_add_f32_e32 v222, v222, v190                             // 00000002960C: 03BD7DDE
	v_add_f32_e32 v223, v223, v191                             // 000000029610: 03BF7FDF
	v_rcp_f32_e32 v45, v48                                     // 000000029614: 7E5A4530
	s_waitcnt lgkmcnt(0)                                       // 000000029618: BF8CC07F
	s_barrier                                                  // 00000002961C: BF8A0000
	ds_read_b64 v[128:129], v9 offset:29184                    // 000000029620: D8EC7200 80000009
	ds_read_b64 v[130:131], v9 offset:29312                    // 000000029628: D8EC7280 82000009
	ds_read_b64 v[132:133], v9 offset:30208                    // 000000029630: D8EC7600 84000009
	ds_read_b64 v[134:135], v9 offset:30336                    // 000000029638: D8EC7680 86000009
	ds_read_b64 v[136:137], v9 offset:31232                    // 000000029640: D8EC7A00 88000009
	ds_read_b64 v[138:139], v9 offset:31360                    // 000000029648: D8EC7A80 8A000009
	ds_read_b64 v[140:141], v9 offset:32256                    // 000000029650: D8EC7E00 8C000009
	ds_read_b64 v[142:143], v9 offset:32384                    // 000000029658: D8EC7E80 8E000009
	v_mov_b32_dpp v64, v42 row_shr:4 row_mask:0xf bank_mask:0xf// 000000029660: 7E8002FA FF01142A
	v_mov_b32_dpp v65, v42 row_shl:4 row_mask:0xf bank_mask:0xf// 000000029668: 7E8202FA FF01042A
	v_cndmask_b32_e64 v248, v42, v64, s[44:45]                 // 000000029670: D10000F8 00B2812A
	v_cndmask_b32_e64 v249, v65, v42, s[44:45]                 // 000000029678: D10000F9 00B25541
	v_mov_b32_dpp v64, v248 row_shr:8 row_mask:0xf bank_mask:0xf// 000000029680: 7E8002FA FF0118F8
	v_mov_b32_dpp v65, v248 row_shl:8 row_mask:0xf bank_mask:0xf// 000000029688: 7E8202FA FF0108F8
	v_mov_b32_dpp v66, v249 row_shr:8 row_mask:0xf bank_mask:0xf// 000000029690: 7E8402FA FF0118F9
	v_mov_b32_dpp v67, v249 row_shl:8 row_mask:0xf bank_mask:0xf// 000000029698: 7E8602FA FF0108F9
	v_mov_b32_e32 v68, v248                                    // 0000000296A0: 7E8803F8
	v_mov_b32_e32 v69, v249                                    // 0000000296A4: 7E8A03F9
	v_cndmask_b32_e64 v248, v68, v64, s[42:43]                 // 0000000296A8: D10000F8 00AA8144
	v_cndmask_b32_e64 v250, v68, v65, s[78:79]                 // 0000000296B0: D10000FA 013A8344
	v_cndmask_b32_e64 v249, v69, v66, s[42:43]                 // 0000000296B8: D10000F9 00AA8545
	v_cndmask_b32_e64 v251, v69, v67, s[78:79]                 // 0000000296C0: D10000FB 013A8745
	v_mov_b32_dpp v64, v57 row_shr:4 row_mask:0xf bank_mask:0xf// 0000000296C8: 7E8002FA FF011439
	v_mov_b32_dpp v65, v57 row_shl:4 row_mask:0xf bank_mask:0xf// 0000000296D0: 7E8202FA FF010439
	v_cndmask_b32_e64 v252, v57, v64, s[44:45]                 // 0000000296D8: D10000FC 00B28139
	v_cndmask_b32_e64 v253, v65, v57, s[44:45]                 // 0000000296E0: D10000FD 00B27341
	v_mov_b32_dpp v64, v252 row_shr:8 row_mask:0xf bank_mask:0xf// 0000000296E8: 7E8002FA FF0118FC
	v_mov_b32_dpp v65, v252 row_shl:8 row_mask:0xf bank_mask:0xf// 0000000296F0: 7E8202FA FF0108FC
	v_mov_b32_dpp v66, v253 row_shr:8 row_mask:0xf bank_mask:0xf// 0000000296F8: 7E8402FA FF0118FD
	v_mov_b32_dpp v67, v253 row_shl:8 row_mask:0xf bank_mask:0xf// 000000029700: 7E8602FA FF0108FD
	v_mov_b32_e32 v68, v252                                    // 000000029708: 7E8803FC
	v_mov_b32_e32 v69, v253                                    // 00000002970C: 7E8A03FD
	v_cndmask_b32_e64 v252, v68, v64, s[42:43]                 // 000000029710: D10000FC 00AA8144
	v_cndmask_b32_e64 v254, v68, v65, s[78:79]                 // 000000029718: D10000FE 013A8344
	v_cndmask_b32_e64 v253, v69, v66, s[42:43]                 // 000000029720: D10000FD 00AA8545
	v_cndmask_b32_e64 v255, v69, v67, s[78:79]                 // 000000029728: D10000FF 013A8745
	v_mul_f32_e32 v144, v20, v144                              // 000000029730: 0B212114
	v_mul_f32_e32 v145, v20, v145                              // 000000029734: 0B232314
	v_mul_f32_e32 v146, v20, v146                              // 000000029738: 0B252514
	v_mul_f32_e32 v147, v20, v147                              // 00000002973C: 0B272714
	v_mul_f32_e32 v148, v20, v148                              // 000000029740: 0B292914
	v_mul_f32_e32 v149, v20, v149                              // 000000029744: 0B2B2B14
	v_mul_f32_e32 v150, v20, v150                              // 000000029748: 0B2D2D14
	v_mul_f32_e32 v151, v20, v151                              // 00000002974C: 0B2F2F14
	v_mul_f32_e32 v152, v20, v152                              // 000000029750: 0B313114
	v_mul_f32_e32 v153, v20, v153                              // 000000029754: 0B333314
	v_mul_f32_e32 v154, v20, v154                              // 000000029758: 0B353514
	v_mul_f32_e32 v155, v20, v155                              // 00000002975C: 0B373714
	v_mul_f32_e32 v156, v20, v156                              // 000000029760: 0B393914
	v_mul_f32_e32 v157, v20, v157                              // 000000029764: 0B3B3B14
	v_mul_f32_e32 v158, v20, v158                              // 000000029768: 0B3D3D14
	v_mul_f32_e32 v159, v20, v159                              // 00000002976C: 0B3F3F14
	v_mul_f32_dpp v144, v248, v144 quad_perm:[0,0,0,0] row_mask:0xf bank_mask:0xf// 000000029770: 0B2120FA FF0000F8
	v_mul_f32_dpp v145, v248, v145 quad_perm:[1,1,1,1] row_mask:0xf bank_mask:0xf// 000000029778: 0B2322FA FF0055F8
	v_mul_f32_dpp v146, v248, v146 quad_perm:[2,2,2,2] row_mask:0xf bank_mask:0xf// 000000029780: 0B2524FA FF00AAF8
	v_mul_f32_dpp v147, v248, v147 quad_perm:[3,3,3,3] row_mask:0xf bank_mask:0xf// 000000029788: 0B2726FA FF00FFF8
	v_mul_f32_dpp v148, v249, v148 quad_perm:[0,0,0,0] row_mask:0xf bank_mask:0xf// 000000029790: 0B2928FA FF0000F9
	v_mul_f32_dpp v149, v249, v149 quad_perm:[1,1,1,1] row_mask:0xf bank_mask:0xf// 000000029798: 0B2B2AFA FF0055F9
	v_mul_f32_dpp v150, v249, v150 quad_perm:[2,2,2,2] row_mask:0xf bank_mask:0xf// 0000000297A0: 0B2D2CFA FF00AAF9
	v_mul_f32_dpp v151, v249, v151 quad_perm:[3,3,3,3] row_mask:0xf bank_mask:0xf// 0000000297A8: 0B2F2EFA FF00FFF9
	v_mul_f32_dpp v152, v250, v152 quad_perm:[0,0,0,0] row_mask:0xf bank_mask:0xf// 0000000297B0: 0B3130FA FF0000FA
	v_mul_f32_dpp v153, v250, v153 quad_perm:[1,1,1,1] row_mask:0xf bank_mask:0xf// 0000000297B8: 0B3332FA FF0055FA
	v_mul_f32_dpp v154, v250, v154 quad_perm:[2,2,2,2] row_mask:0xf bank_mask:0xf// 0000000297C0: 0B3534FA FF00AAFA
	v_mul_f32_dpp v155, v250, v155 quad_perm:[3,3,3,3] row_mask:0xf bank_mask:0xf// 0000000297C8: 0B3736FA FF00FFFA
	v_mul_f32_dpp v156, v251, v156 quad_perm:[0,0,0,0] row_mask:0xf bank_mask:0xf// 0000000297D0: 0B3938FA FF0000FB
	v_mul_f32_dpp v157, v251, v157 quad_perm:[1,1,1,1] row_mask:0xf bank_mask:0xf// 0000000297D8: 0B3B3AFA FF0055FB
	v_mul_f32_dpp v158, v251, v158 quad_perm:[2,2,2,2] row_mask:0xf bank_mask:0xf// 0000000297E0: 0B3D3CFA FF00AAFB
	v_mul_f32_dpp v159, v251, v159 quad_perm:[3,3,3,3] row_mask:0xf bank_mask:0xf// 0000000297E8: 0B3F3EFA FF00FFFB
	s_cmp_le_i32 s90, s89                                      // 0000000297F0: BF05595A
	s_cbranch_scc1 label_9DEF                                  // 0000000297F4: BF850071
	v_mov_b32_e32 v66, 0xff800000                              // 0000000297F8: 7E8402FF FF800000
	s_mov_b32 s60, s90                                         // 000000029800: BEBC005A
	s_add_u32 s61, s89, 0xff                                   // 000000029804: 803DFF59 000000FF
	v_mov_b32_e32 v64, s61                                     // 00000002980C: 7E80023D
	v_lshrrev_b32_e32 v240, 4, v0                              // 000000029810: 21E00084
	v_mul_i32_i24_e32 v240, 4, v240                            // 000000029814: 0DE1E084
	v_add_u32_e32 v240, s60, v240                              // 000000029818: 69E1E03C
	s_mov_b32 s61, 2                                           // 00000002981C: BEBD0082
	s_mul_i32 s60, 16, s7                                      // 000000029820: 923C0790
	v_sub_u32_e64 v240, v240, s61                              // 000000029824: D13500F0 00007BF0
	v_add_u32_e32 v240, s60, v240                              // 00000002982C: 69E1E03C
	v_add_u32_e32 v241, 1, v240                                // 000000029830: 69E3E081
	v_add_u32_e32 v242, 2, v240                                // 000000029834: 69E5E082
	v_add_u32_e32 v243, 3, v240                                // 000000029838: 69E7E083
	v_cmp_le_u32_e64 s[40:41], v240, v64                       // 00000002983C: D0CB0028 000281F0
	v_add_u32_e32 v240, 64, v240                               // 000000029844: 69E1E0C0
	s_nop 0                                                    // 000000029848: BF800000
	v_cndmask_b32_e64 v144, v66, v144, s[40:41]                // 00000002984C: D1000090 00A32142
	v_cmp_le_u32_e64 s[40:41], v241, v64                       // 000000029854: D0CB0028 000281F1
	v_add_u32_e32 v241, 64, v241                               // 00000002985C: 69E3E2C0
	s_nop 0                                                    // 000000029860: BF800000
	v_cndmask_b32_e64 v145, v66, v145, s[40:41]                // 000000029864: D1000091 00A32342
	v_cmp_le_u32_e64 s[40:41], v242, v64                       // 00000002986C: D0CB0028 000281F2
	v_add_u32_e32 v242, 64, v242                               // 000000029874: 69E5E4C0
	s_nop 0                                                    // 000000029878: BF800000
	v_cndmask_b32_e64 v146, v66, v146, s[40:41]                // 00000002987C: D1000092 00A32542
	v_cmp_le_u32_e64 s[40:41], v243, v64                       // 000000029884: D0CB0028 000281F3
	v_add_u32_e32 v243, 64, v243                               // 00000002988C: 69E7E6C0
	s_nop 0                                                    // 000000029890: BF800000
	v_cndmask_b32_e64 v147, v66, v147, s[40:41]                // 000000029894: D1000093 00A32742
	v_cmp_le_u32_e64 s[40:41], v240, v64                       // 00000002989C: D0CB0028 000281F0
	v_add_u32_e32 v240, 64, v240                               // 0000000298A4: 69E1E0C0
	s_nop 0                                                    // 0000000298A8: BF800000
	v_cndmask_b32_e64 v148, v66, v148, s[40:41]                // 0000000298AC: D1000094 00A32942
	v_cmp_le_u32_e64 s[40:41], v241, v64                       // 0000000298B4: D0CB0028 000281F1
	v_add_u32_e32 v241, 64, v241                               // 0000000298BC: 69E3E2C0
	s_nop 0                                                    // 0000000298C0: BF800000
	v_cndmask_b32_e64 v149, v66, v149, s[40:41]                // 0000000298C4: D1000095 00A32B42
	v_cmp_le_u32_e64 s[40:41], v242, v64                       // 0000000298CC: D0CB0028 000281F2
	v_add_u32_e32 v242, 64, v242                               // 0000000298D4: 69E5E4C0
	s_nop 0                                                    // 0000000298D8: BF800000
	v_cndmask_b32_e64 v150, v66, v150, s[40:41]                // 0000000298DC: D1000096 00A32D42
	v_cmp_le_u32_e64 s[40:41], v243, v64                       // 0000000298E4: D0CB0028 000281F3
	v_add_u32_e32 v243, 64, v243                               // 0000000298EC: 69E7E6C0
	s_nop 0                                                    // 0000000298F0: BF800000
	v_cndmask_b32_e64 v151, v66, v151, s[40:41]                // 0000000298F4: D1000097 00A32F42
	v_cmp_le_u32_e64 s[40:41], v240, v64                       // 0000000298FC: D0CB0028 000281F0
	v_add_u32_e32 v240, 64, v240                               // 000000029904: 69E1E0C0
	s_nop 0                                                    // 000000029908: BF800000
	v_cndmask_b32_e64 v152, v66, v152, s[40:41]                // 00000002990C: D1000098 00A33142
	v_cmp_le_u32_e64 s[40:41], v241, v64                       // 000000029914: D0CB0028 000281F1
	v_add_u32_e32 v241, 64, v241                               // 00000002991C: 69E3E2C0
	s_nop 0                                                    // 000000029920: BF800000
	v_cndmask_b32_e64 v153, v66, v153, s[40:41]                // 000000029924: D1000099 00A33342
	v_cmp_le_u32_e64 s[40:41], v242, v64                       // 00000002992C: D0CB0028 000281F2
	v_add_u32_e32 v242, 64, v242                               // 000000029934: 69E5E4C0
	s_nop 0                                                    // 000000029938: BF800000
	v_cndmask_b32_e64 v154, v66, v154, s[40:41]                // 00000002993C: D100009A 00A33542
	v_cmp_le_u32_e64 s[40:41], v243, v64                       // 000000029944: D0CB0028 000281F3
	v_add_u32_e32 v243, 64, v243                               // 00000002994C: 69E7E6C0
	s_nop 0                                                    // 000000029950: BF800000
	v_cndmask_b32_e64 v155, v66, v155, s[40:41]                // 000000029954: D100009B 00A33742
	v_cmp_le_u32_e64 s[40:41], v240, v64                       // 00000002995C: D0CB0028 000281F0
	v_add_u32_e32 v240, 64, v240                               // 000000029964: 69E1E0C0
	s_nop 0                                                    // 000000029968: BF800000
	v_cndmask_b32_e64 v156, v66, v156, s[40:41]                // 00000002996C: D100009C 00A33942
	v_cmp_le_u32_e64 s[40:41], v241, v64                       // 000000029974: D0CB0028 000281F1
	v_add_u32_e32 v241, 64, v241                               // 00000002997C: 69E3E2C0
	s_nop 0                                                    // 000000029980: BF800000
	v_cndmask_b32_e64 v157, v66, v157, s[40:41]                // 000000029984: D100009D 00A33B42
	v_cmp_le_u32_e64 s[40:41], v242, v64                       // 00000002998C: D0CB0028 000281F2
	v_add_u32_e32 v242, 64, v242                               // 000000029994: 69E5E4C0
	s_nop 0                                                    // 000000029998: BF800000
	v_cndmask_b32_e64 v158, v66, v158, s[40:41]                // 00000002999C: D100009E 00A33D42
	v_cmp_le_u32_e64 s[40:41], v243, v64                       // 0000000299A4: D0CB0028 000281F3
	v_add_u32_e32 v243, 64, v243                               // 0000000299AC: 69E7E6C0
	s_nop 0                                                    // 0000000299B0: BF800000
	v_cndmask_b32_e64 v159, v66, v159, s[40:41]                // 0000000299B4: D100009F 00A33F42

00000000000299bc <label_9DEF>:
	s_and_b32 s60, s72, 0xff                                   // 0000000299BC: 863CFF48 000000FF
	v_mov_b32_e32 v65, s60                                     // 0000000299C4: 7E82023C
	v_lshrrev_b32_e32 v240, 4, v0                              // 0000000299C8: 21E00084
	v_mul_i32_i24_e32 v240, 4, v240                            // 0000000299CC: 0DE1E084
	s_mul_i32 s60, s7, 16                                      // 0000000299D0: 923C9007
	v_add_u32_e32 v240, s60, v240                              // 0000000299D4: 69E1E03C
	v_add_u32_e32 v241, 1, v240                                // 0000000299D8: 69E3E081
	v_add_u32_e32 v242, 2, v240                                // 0000000299DC: 69E5E082
	v_add_u32_e32 v243, 3, v240                                // 0000000299E0: 69E7E083
	v_mov_b32_e32 v64, 0xff800000                              // 0000000299E4: 7E8002FF FF800000
	v_cmp_lt_u32_e64 s[40:41], v240, v65                       // 0000000299EC: D0C90028 000283F0
	v_add_u32_e32 v240, 64, v240                               // 0000000299F4: 69E1E0C0
	s_nop 0                                                    // 0000000299F8: BF800000
	v_cndmask_b32_e64 v144, v64, v144, s[40:41]                // 0000000299FC: D1000090 00A32140
	v_cmp_lt_u32_e64 s[40:41], v241, v65                       // 000000029A04: D0C90028 000283F1
	v_add_u32_e32 v241, 64, v241                               // 000000029A0C: 69E3E2C0
	s_nop 0                                                    // 000000029A10: BF800000
	v_cndmask_b32_e64 v145, v64, v145, s[40:41]                // 000000029A14: D1000091 00A32340
	v_cmp_lt_u32_e64 s[40:41], v242, v65                       // 000000029A1C: D0C90028 000283F2
	v_add_u32_e32 v242, 64, v242                               // 000000029A24: 69E5E4C0
	s_nop 0                                                    // 000000029A28: BF800000
	v_cndmask_b32_e64 v146, v64, v146, s[40:41]                // 000000029A2C: D1000092 00A32540
	v_cmp_lt_u32_e64 s[40:41], v243, v65                       // 000000029A34: D0C90028 000283F3
	v_add_u32_e32 v243, 64, v243                               // 000000029A3C: 69E7E6C0
	s_nop 0                                                    // 000000029A40: BF800000
	v_cndmask_b32_e64 v147, v64, v147, s[40:41]                // 000000029A44: D1000093 00A32740
	v_cmp_lt_u32_e64 s[40:41], v240, v65                       // 000000029A4C: D0C90028 000283F0
	v_add_u32_e32 v240, 64, v240                               // 000000029A54: 69E1E0C0
	s_nop 0                                                    // 000000029A58: BF800000
	v_cndmask_b32_e64 v148, v64, v148, s[40:41]                // 000000029A5C: D1000094 00A32940
	v_cmp_lt_u32_e64 s[40:41], v241, v65                       // 000000029A64: D0C90028 000283F1
	v_add_u32_e32 v241, 64, v241                               // 000000029A6C: 69E3E2C0
	s_nop 0                                                    // 000000029A70: BF800000
	v_cndmask_b32_e64 v149, v64, v149, s[40:41]                // 000000029A74: D1000095 00A32B40
	v_cmp_lt_u32_e64 s[40:41], v242, v65                       // 000000029A7C: D0C90028 000283F2
	v_add_u32_e32 v242, 64, v242                               // 000000029A84: 69E5E4C0
	s_nop 0                                                    // 000000029A88: BF800000
	v_cndmask_b32_e64 v150, v64, v150, s[40:41]                // 000000029A8C: D1000096 00A32D40
	v_cmp_lt_u32_e64 s[40:41], v243, v65                       // 000000029A94: D0C90028 000283F3
	v_add_u32_e32 v243, 64, v243                               // 000000029A9C: 69E7E6C0
	s_nop 0                                                    // 000000029AA0: BF800000
	v_cndmask_b32_e64 v151, v64, v151, s[40:41]                // 000000029AA4: D1000097 00A32F40
	v_cmp_lt_u32_e64 s[40:41], v240, v65                       // 000000029AAC: D0C90028 000283F0
	v_add_u32_e32 v240, 64, v240                               // 000000029AB4: 69E1E0C0
	s_nop 0                                                    // 000000029AB8: BF800000
	v_cndmask_b32_e64 v152, v64, v152, s[40:41]                // 000000029ABC: D1000098 00A33140
	v_cmp_lt_u32_e64 s[40:41], v241, v65                       // 000000029AC4: D0C90028 000283F1
	v_add_u32_e32 v241, 64, v241                               // 000000029ACC: 69E3E2C0
	s_nop 0                                                    // 000000029AD0: BF800000
	v_cndmask_b32_e64 v153, v64, v153, s[40:41]                // 000000029AD4: D1000099 00A33340
	v_cmp_lt_u32_e64 s[40:41], v242, v65                       // 000000029ADC: D0C90028 000283F2
	v_add_u32_e32 v242, 64, v242                               // 000000029AE4: 69E5E4C0
	s_nop 0                                                    // 000000029AE8: BF800000
	v_cndmask_b32_e64 v154, v64, v154, s[40:41]                // 000000029AEC: D100009A 00A33540
	v_cmp_lt_u32_e64 s[40:41], v243, v65                       // 000000029AF4: D0C90028 000283F3
	v_add_u32_e32 v243, 64, v243                               // 000000029AFC: 69E7E6C0
	s_nop 0                                                    // 000000029B00: BF800000
	v_cndmask_b32_e64 v155, v64, v155, s[40:41]                // 000000029B04: D100009B 00A33740
	v_cmp_lt_u32_e64 s[40:41], v240, v65                       // 000000029B0C: D0C90028 000283F0
	v_add_u32_e32 v240, 64, v240                               // 000000029B14: 69E1E0C0
	s_nop 0                                                    // 000000029B18: BF800000
	v_cndmask_b32_e64 v156, v64, v156, s[40:41]                // 000000029B1C: D100009C 00A33940
	v_cmp_lt_u32_e64 s[40:41], v241, v65                       // 000000029B24: D0C90028 000283F1
	v_add_u32_e32 v241, 64, v241                               // 000000029B2C: 69E3E2C0
	s_nop 0                                                    // 000000029B30: BF800000
	v_cndmask_b32_e64 v157, v64, v157, s[40:41]                // 000000029B34: D100009D 00A33B40
	v_cmp_lt_u32_e64 s[40:41], v242, v65                       // 000000029B3C: D0C90028 000283F2
	v_add_u32_e32 v242, 64, v242                               // 000000029B44: 69E5E4C0
	s_nop 0                                                    // 000000029B48: BF800000
	v_cndmask_b32_e64 v158, v64, v158, s[40:41]                // 000000029B4C: D100009E 00A33D40
	v_cmp_lt_u32_e64 s[40:41], v243, v65                       // 000000029B54: D0C90028 000283F3
	v_add_u32_e32 v243, 64, v243                               // 000000029B5C: 69E7E6C0
	s_nop 0                                                    // 000000029B60: BF800000
	v_cndmask_b32_e64 v159, v64, v159, s[40:41]                // 000000029B64: D100009F 00A33F40
	v_mov_b32_e32 v48, v144                                    // 000000029B6C: 7E600390
	v_max3_f32 v48, v144, v145, v48                            // 000000029B70: D1D30030 04C32390
	v_max3_f32 v48, v146, v147, v48                            // 000000029B78: D1D30030 04C32792
	v_max3_f32 v48, v148, v149, v48                            // 000000029B80: D1D30030 04C32B94
	v_max3_f32 v48, v150, v151, v48                            // 000000029B88: D1D30030 04C32F96
	v_max3_f32 v48, v152, v153, v48                            // 000000029B90: D1D30030 04C33398
	v_max3_f32 v48, v154, v155, v48                            // 000000029B98: D1D30030 04C3379A
	v_max3_f32 v48, v156, v157, v48                            // 000000029BA0: D1D30030 04C33B9C
	v_max3_f32 v48, v158, v159, v48                            // 000000029BA8: D1D30030 04C33F9E
	ds_write_b32 v8, v48 offset:16896                          // 000000029BB0: D81A4200 00003008
	v_mul_f32_e32 v224, v51, v224                              // 000000029BB8: 0BC1C133
	v_mul_f32_e32 v225, v51, v225                              // 000000029BBC: 0BC3C333
	v_mul_f32_e32 v226, v51, v226                              // 000000029BC0: 0BC5C533
	v_mul_f32_e32 v227, v51, v227                              // 000000029BC4: 0BC7C733
	v_mul_f32_e32 v228, v51, v228                              // 000000029BC8: 0BC9C933
	v_mul_f32_e32 v229, v51, v229                              // 000000029BCC: 0BCBCB33
	v_mul_f32_e32 v230, v51, v230                              // 000000029BD0: 0BCDCD33
	v_mul_f32_e32 v231, v51, v231                              // 000000029BD4: 0BCFCF33
	s_waitcnt lgkmcnt(0)                                       // 000000029BD8: BF8CC07F
	s_barrier                                                  // 000000029BDC: BF8A0000
	ds_read_b32 v64, v7 offset:16896                           // 000000029BE0: D86C4200 40000007
	ds_read_b32 v65, v7 offset:16960                           // 000000029BE8: D86C4240 41000007
	ds_read_b32 v66, v7 offset:17024                           // 000000029BF0: D86C4280 42000007
	ds_read_b32 v67, v7 offset:17088                           // 000000029BF8: D86C42C0 43000007
	ds_read_b32 v68, v7 offset:17152                           // 000000029C00: D86C4300 44000007
	ds_read_b32 v69, v7 offset:17216                           // 000000029C08: D86C4340 45000007
	ds_read_b32 v70, v7 offset:17280                           // 000000029C10: D86C4380 46000007
	ds_read_b32 v71, v7 offset:17344                           // 000000029C18: D86C43C0 47000007
	ds_read_b32 v72, v7 offset:17408                           // 000000029C20: D86C4400 48000007
	ds_read_b32 v73, v7 offset:17472                           // 000000029C28: D86C4440 49000007
	ds_read_b32 v74, v7 offset:17536                           // 000000029C30: D86C4480 4A000007
	ds_read_b32 v75, v7 offset:17600                           // 000000029C38: D86C44C0 4B000007
	ds_read_b32 v76, v7 offset:17664                           // 000000029C40: D86C4500 4C000007
	ds_read_b32 v77, v7 offset:17728                           // 000000029C48: D86C4540 4D000007
	ds_read_b32 v78, v7 offset:17792                           // 000000029C50: D86C4580 4E000007
	ds_read_b32 v79, v7 offset:17856                           // 000000029C58: D86C45C0 4F000007
	v_mul_f32_e32 v192, v46, v192                              // 000000029C60: 0B81812E
	v_mul_f32_e32 v193, v46, v193                              // 000000029C64: 0B83832E
	v_mul_f32_e32 v194, v46, v194                              // 000000029C68: 0B85852E
	v_mul_f32_e32 v195, v46, v195                              // 000000029C6C: 0B87872E
	v_mul_f32_e32 v196, v46, v196                              // 000000029C70: 0B89892E
	v_mul_f32_e32 v197, v46, v197                              // 000000029C74: 0B8B8B2E
	v_mul_f32_e32 v198, v46, v198                              // 000000029C78: 0B8D8D2E
	v_mul_f32_e32 v199, v46, v199                              // 000000029C7C: 0B8F8F2E
	s_waitcnt lgkmcnt(0)                                       // 000000029C80: BF8CC07F
	v_max3_f32 v48, v64, v65, v48                              // 000000029C84: D1D30030 04C28340
	v_max3_f32 v48, v66, v67, v48                              // 000000029C8C: D1D30030 04C28742
	v_max3_f32 v48, v68, v69, v48                              // 000000029C94: D1D30030 04C28B44
	v_max3_f32 v48, v70, v71, v48                              // 000000029C9C: D1D30030 04C28F46
	v_max3_f32 v48, v72, v73, v48                              // 000000029CA4: D1D30030 04C29348
	v_max3_f32 v48, v74, v75, v48                              // 000000029CAC: D1D30030 04C2974A
	v_max3_f32 v48, v76, v77, v48                              // 000000029CB4: D1D30030 04C29B4C
	v_max3_f32 v48, v78, v79, v48                              // 000000029CBC: D1D30030 04C29F4E
	v_mov_b32_e32 v64, 0xff800000                              // 000000029CC4: 7E8002FF FF800000
	v_cmp_eq_u32_e64 s[40:41], v64, v13                        // 000000029CCC: D0CA0028 00021B40
	s_nop 1                                                    // 000000029CD4: BF800001
	v_max_f32_e32 v15, v48, v13                                // 000000029CD8: 161E1B30
	v_mul_f32_e32 v53, s64, v15                                // 000000029CDC: 0A6A1E40
	v_fma_f32 v144, v144, s64, -v53                            // 000000029CE0: D1CB0090 84D48190
	v_fma_f32 v145, v145, s64, -v53                            // 000000029CE8: D1CB0091 84D48191
	v_fma_f32 v146, v146, s64, -v53                            // 000000029CF0: D1CB0092 84D48192
	v_fma_f32 v147, v147, s64, -v53                            // 000000029CF8: D1CB0093 84D48193
	v_fma_f32 v148, v148, s64, -v53                            // 000000029D00: D1CB0094 84D48194
	v_fma_f32 v149, v149, s64, -v53                            // 000000029D08: D1CB0095 84D48195
	v_fma_f32 v150, v150, s64, -v53                            // 000000029D10: D1CB0096 84D48196
	v_fma_f32 v151, v151, s64, -v53                            // 000000029D18: D1CB0097 84D48197
	v_fma_f32 v152, v152, s64, -v53                            // 000000029D20: D1CB0098 84D48198
	v_fma_f32 v153, v153, s64, -v53                            // 000000029D28: D1CB0099 84D48199
	v_fma_f32 v154, v154, s64, -v53                            // 000000029D30: D1CB009A 84D4819A
	v_fma_f32 v155, v155, s64, -v53                            // 000000029D38: D1CB009B 84D4819B
	v_fma_f32 v156, v156, s64, -v53                            // 000000029D40: D1CB009C 84D4819C
	v_fma_f32 v157, v157, s64, -v53                            // 000000029D48: D1CB009D 84D4819D
	v_fma_f32 v158, v158, s64, -v53                            // 000000029D50: D1CB009E 84D4819E
	v_fma_f32 v159, v159, s64, -v53                            // 000000029D58: D1CB009F 84D4819F
	v_exp_f32_e32 v144, v144                                   // 000000029D60: 7F204190
	v_exp_f32_e32 v145, v145                                   // 000000029D64: 7F224191
	v_exp_f32_e32 v146, v146                                   // 000000029D68: 7F244192
	v_exp_f32_e32 v147, v147                                   // 000000029D6C: 7F264193
	v_exp_f32_e32 v148, v148                                   // 000000029D70: 7F284194
	v_exp_f32_e32 v149, v149                                   // 000000029D74: 7F2A4195
	v_exp_f32_e32 v150, v150                                   // 000000029D78: 7F2C4196
	v_exp_f32_e32 v151, v151                                   // 000000029D7C: 7F2E4197
	v_exp_f32_e32 v152, v152                                   // 000000029D80: 7F304198
	v_exp_f32_e32 v153, v153                                   // 000000029D84: 7F324199
	v_exp_f32_e32 v154, v154                                   // 000000029D88: 7F34419A
	v_exp_f32_e32 v155, v155                                   // 000000029D8C: 7F36419B
	v_exp_f32_e32 v156, v156                                   // 000000029D90: 7F38419C
	v_exp_f32_e32 v157, v157                                   // 000000029D94: 7F3A419D
	v_exp_f32_e32 v158, v158                                   // 000000029D98: 7F3C419E
	v_exp_f32_e32 v159, v159                                   // 000000029D9C: 7F3E419F
	v_mul_f32_dpp v240, v252, v144 quad_perm:[0,0,0,0] row_mask:0xf bank_mask:0xf// 000000029DA0: 0BE120FA FF0000FC
	v_mul_f32_dpp v241, v252, v145 quad_perm:[1,1,1,1] row_mask:0xf bank_mask:0xf// 000000029DA8: 0BE322FA FF0055FC
	v_mul_f32_dpp v242, v252, v146 quad_perm:[2,2,2,2] row_mask:0xf bank_mask:0xf// 000000029DB0: 0BE524FA FF00AAFC
	v_mul_f32_dpp v243, v252, v147 quad_perm:[3,3,3,3] row_mask:0xf bank_mask:0xf// 000000029DB8: 0BE726FA FF00FFFC
	v_mul_f32_dpp v244, v253, v148 quad_perm:[0,0,0,0] row_mask:0xf bank_mask:0xf// 000000029DC0: 0BE928FA FF0000FD
	v_mul_f32_dpp v245, v253, v149 quad_perm:[1,1,1,1] row_mask:0xf bank_mask:0xf// 000000029DC8: 0BEB2AFA FF0055FD
	v_mul_f32_dpp v246, v253, v150 quad_perm:[2,2,2,2] row_mask:0xf bank_mask:0xf// 000000029DD0: 0BED2CFA FF00AAFD
	v_mul_f32_dpp v247, v253, v151 quad_perm:[3,3,3,3] row_mask:0xf bank_mask:0xf// 000000029DD8: 0BEF2EFA FF00FFFD
	v_mul_f32_dpp v248, v254, v152 quad_perm:[0,0,0,0] row_mask:0xf bank_mask:0xf// 000000029DE0: 0BF130FA FF0000FE
	v_mul_f32_dpp v249, v254, v153 quad_perm:[1,1,1,1] row_mask:0xf bank_mask:0xf// 000000029DE8: 0BF332FA FF0055FE
	v_mul_f32_dpp v250, v254, v154 quad_perm:[2,2,2,2] row_mask:0xf bank_mask:0xf// 000000029DF0: 0BF534FA FF00AAFE
	v_mul_f32_dpp v251, v254, v155 quad_perm:[3,3,3,3] row_mask:0xf bank_mask:0xf// 000000029DF8: 0BF736FA FF00FFFE
	v_mul_f32_dpp v252, v255, v156 quad_perm:[0,0,0,0] row_mask:0xf bank_mask:0xf// 000000029E00: 0BF938FA FF0000FF
	v_mul_f32_dpp v253, v255, v157 quad_perm:[1,1,1,1] row_mask:0xf bank_mask:0xf// 000000029E08: 0BFB3AFA FF0055FF
	v_mul_f32_dpp v254, v255, v158 quad_perm:[2,2,2,2] row_mask:0xf bank_mask:0xf// 000000029E10: 0BFD3CFA FF00AAFF
	v_mul_f32_dpp v255, v255, v159 quad_perm:[3,3,3,3] row_mask:0xf bank_mask:0xf// 000000029E18: 0BFF3EFA FF00FFFF
	v_mov_b32_e32 v48, 0x358637bd                              // 000000029E20: 7E6002FF 358637BD
	v_max3_f32 v48, |v240|, |v241|, v48                        // 000000029E28: D1D30330 04C3E3F0
	v_max3_f32 v48, |v242|, |v243|, v48                        // 000000029E30: D1D30330 04C3E7F2
	v_max3_f32 v48, |v244|, |v245|, v48                        // 000000029E38: D1D30330 04C3EBF4
	v_max3_f32 v48, |v246|, |v247|, v48                        // 000000029E40: D1D30330 04C3EFF6
	v_max3_f32 v48, |v248|, |v249|, v48                        // 000000029E48: D1D30330 04C3F3F8
	v_max3_f32 v48, |v250|, |v251|, v48                        // 000000029E50: D1D30330 04C3F7FA
	v_max3_f32 v48, |v252|, |v253|, v48                        // 000000029E58: D1D30330 04C3FBFC
	v_max3_f32 v48, |v254|, |v255|, v48                        // 000000029E60: D1D30330 04C3FFFE
	ds_write_b32 v8, v48 offset:20992                          // 000000029E68: D81A5200 00003008
	v_sub_f32_e32 v51, v13, v15                                // 000000029E70: 04661F0D
	v_cndmask_b32_e64 v51, v51, 0, s[40:41]                    // 000000029E74: D1000033 00A10133
	v_mov_b32_e32 v13, v15                                     // 000000029E7C: 7E1A030F
	v_mul_f32_e32 v51, s64, v51                                // 000000029E80: 0A666640
	v_exp_f32_e32 v51, v51                                     // 000000029E84: 7E664133
	s_waitcnt lgkmcnt(0)                                       // 000000029E88: BF8CC07F
	s_barrier                                                  // 000000029E8C: BF8A0000
	ds_read_b32 v64, v7 offset:20992                           // 000000029E90: D86C5200 40000007
	ds_read_b32 v65, v7 offset:21056                           // 000000029E98: D86C5240 41000007
	ds_read_b32 v66, v7 offset:21120                           // 000000029EA0: D86C5280 42000007
	ds_read_b32 v67, v7 offset:21184                           // 000000029EA8: D86C52C0 43000007
	ds_read_b32 v68, v7 offset:21248                           // 000000029EB0: D86C5300 44000007
	ds_read_b32 v69, v7 offset:21312                           // 000000029EB8: D86C5340 45000007
	ds_read_b32 v70, v7 offset:21376                           // 000000029EC0: D86C5380 46000007
	ds_read_b32 v71, v7 offset:21440                           // 000000029EC8: D86C53C0 47000007
	ds_read_b32 v72, v7 offset:21504                           // 000000029ED0: D86C5400 48000007
	ds_read_b32 v73, v7 offset:21568                           // 000000029ED8: D86C5440 49000007
	ds_read_b32 v74, v7 offset:21632                           // 000000029EE0: D86C5480 4A000007
	ds_read_b32 v75, v7 offset:21696                           // 000000029EE8: D86C54C0 4B000007
	ds_read_b32 v76, v7 offset:21760                           // 000000029EF0: D86C5500 4C000007
	ds_read_b32 v77, v7 offset:21824                           // 000000029EF8: D86C5540 4D000007
	ds_read_b32 v78, v7 offset:21888                           // 000000029F00: D86C5580 4E000007
	ds_read_b32 v79, v7 offset:21952                           // 000000029F08: D86C55C0 4F000007
	v_mul_f32_e32 v40, v51, v40                                // 000000029F10: 0A505133
	v_mov_b32_e32 v15, v144                                    // 000000029F14: 7E1E0390
	v_add_f32_e32 v15, v145, v15                               // 000000029F18: 021E1F91
	v_add_f32_e32 v15, v146, v15                               // 000000029F1C: 021E1F92
	v_add_f32_e32 v15, v147, v15                               // 000000029F20: 021E1F93
	v_add_f32_e32 v15, v148, v15                               // 000000029F24: 021E1F94
	v_add_f32_e32 v15, v149, v15                               // 000000029F28: 021E1F95
	v_add_f32_e32 v15, v150, v15                               // 000000029F2C: 021E1F96
	v_add_f32_e32 v15, v151, v15                               // 000000029F30: 021E1F97
	v_add_f32_e32 v15, v152, v15                               // 000000029F34: 021E1F98
	v_add_f32_e32 v15, v153, v15                               // 000000029F38: 021E1F99
	v_add_f32_e32 v15, v154, v15                               // 000000029F3C: 021E1F9A
	v_add_f32_e32 v15, v155, v15                               // 000000029F40: 021E1F9B
	v_add_f32_e32 v15, v156, v15                               // 000000029F44: 021E1F9C
	v_add_f32_e32 v15, v157, v15                               // 000000029F48: 021E1F9D
	v_add_f32_e32 v15, v158, v15                               // 000000029F4C: 021E1F9E
	v_add_f32_e32 v15, v159, v15                               // 000000029F50: 021E1F9F
	v_add_f32_e32 v40, v15, v40                                // 000000029F54: 0250510F
	s_waitcnt lgkmcnt(0)                                       // 000000029F58: BF8CC07F
	v_max3_f32 v48, |v64|, |v65|, v48                          // 000000029F5C: D1D30330 04C28340
	v_max3_f32 v48, |v66|, |v67|, v48                          // 000000029F64: D1D30330 04C28742
	v_max3_f32 v48, |v68|, |v69|, v48                          // 000000029F6C: D1D30330 04C28B44
	v_max3_f32 v48, |v70|, |v71|, v48                          // 000000029F74: D1D30330 04C28F46
	v_max3_f32 v48, |v72|, |v73|, v48                          // 000000029F7C: D1D30330 04C29348
	v_max3_f32 v48, |v74|, |v75|, v48                          // 000000029F84: D1D30330 04C2974A
	v_max3_f32 v48, |v76|, |v77|, v48                          // 000000029F8C: D1D30330 04C29B4C
	v_max3_f32 v48, |v78|, |v79|, v48                          // 000000029F94: D1D30330 04C29F4E
	s_nop 2                                                    // 000000029F9C: BF800002
	v_rcp_f32_e32 v48, v48                                     // 000000029FA0: 7E604530
	s_nop 1                                                    // 000000029FA4: BF800001
	v_mul_f32_e32 v48, 0x43e00000, v48                         // 000000029FA8: 0A6060FF 43E00000
	v_mul_f32_e32 v144, v48, v240                              // 000000029FB0: 0B21E130
	v_mul_f32_e32 v145, v48, v241                              // 000000029FB4: 0B23E330
	v_mul_f32_e32 v146, v48, v242                              // 000000029FB8: 0B25E530
	v_mul_f32_e32 v147, v48, v243                              // 000000029FBC: 0B27E730
	v_mul_f32_e32 v148, v48, v244                              // 000000029FC0: 0B29E930
	v_mul_f32_e32 v149, v48, v245                              // 000000029FC4: 0B2BEB30
	v_mul_f32_e32 v150, v48, v246                              // 000000029FC8: 0B2DED30
	v_mul_f32_e32 v151, v48, v247                              // 000000029FCC: 0B2FEF30
	v_mul_f32_e32 v152, v48, v248                              // 000000029FD0: 0B31F130
	v_mul_f32_e32 v153, v48, v249                              // 000000029FD4: 0B33F330
	v_mul_f32_e32 v154, v48, v250                              // 000000029FD8: 0B35F530
	v_mul_f32_e32 v155, v48, v251                              // 000000029FDC: 0B37F730
	v_mul_f32_e32 v156, v48, v252                              // 000000029FE0: 0B39F930
	v_mul_f32_e32 v157, v48, v253                              // 000000029FE4: 0B3BFB30
	v_mul_f32_e32 v158, v48, v254                              // 000000029FE8: 0B3DFD30
	v_mul_f32_e32 v159, v48, v255                              // 000000029FEC: 0B3FFF30
	v_cvt_pk_fp8_f32 v144, v144, v145                          // 000000029FF0: D2A20090 00032390
	v_cvt_pk_fp8_f32 v144, v146, v147 op_sel:[0,0,1]           // 000000029FF8: D2A24090 00032792
	v_cvt_pk_fp8_f32 v145, v148, v149                          // 00000002A000: D2A20091 00032B94
	v_cvt_pk_fp8_f32 v145, v150, v151 op_sel:[0,0,1]           // 00000002A008: D2A24091 00032F96
	v_cvt_pk_fp8_f32 v146, v152, v153                          // 00000002A010: D2A20092 00033398
	v_cvt_pk_fp8_f32 v146, v154, v155 op_sel:[0,0,1]           // 00000002A018: D2A24092 0003379A
	v_cvt_pk_fp8_f32 v147, v156, v157                          // 00000002A020: D2A20093 00033B9C
	v_cvt_pk_fp8_f32 v147, v158, v159 op_sel:[0,0,1]           // 00000002A028: D2A24093 00033F9E
	ds_write_b32 v10, v144 offset:33280                        // 00000002A030: D81A8200 0000900A
	ds_write_b32 v10, v145 offset:34304                        // 00000002A038: D81A8600 0000910A
	ds_write_b32 v10, v146 offset:35328                        // 00000002A040: D81A8A00 0000920A
	ds_write_b32 v10, v147 offset:36352                        // 00000002A048: D81A8E00 0000930A
	v_add_f32_e32 v224, v224, v192                             // 00000002A050: 03C181E0
	v_add_f32_e32 v225, v225, v193                             // 00000002A054: 03C383E1
	v_add_f32_e32 v226, v226, v194                             // 00000002A058: 03C585E2
	v_add_f32_e32 v227, v227, v195                             // 00000002A05C: 03C787E3
	v_add_f32_e32 v228, v228, v196                             // 00000002A060: 03C989E4
	v_add_f32_e32 v229, v229, v197                             // 00000002A064: 03CB8BE5
	v_add_f32_e32 v230, v230, v198                             // 00000002A068: 03CD8DE6
	v_add_f32_e32 v231, v231, v199                             // 00000002A06C: 03CF8FE7
	v_rcp_f32_e32 v46, v48                                     // 00000002A070: 7E5C4530
	s_waitcnt lgkmcnt(0)                                       // 00000002A074: BF8CC07F
	s_barrier                                                  // 00000002A078: BF8A0000
	ds_read_b64 v[144:145], v9 offset:33280                    // 00000002A07C: D8EC8200 90000009
	ds_read_b64 v[146:147], v9 offset:33408                    // 00000002A084: D8EC8280 92000009
	ds_read_b64 v[148:149], v9 offset:34304                    // 00000002A08C: D8EC8600 94000009
	ds_read_b64 v[150:151], v9 offset:34432                    // 00000002A094: D8EC8680 96000009
	ds_read_b64 v[152:153], v9 offset:35328                    // 00000002A09C: D8EC8A00 98000009
	ds_read_b64 v[154:155], v9 offset:35456                    // 00000002A0A4: D8EC8A80 9A000009
	ds_read_b64 v[156:157], v9 offset:36352                    // 00000002A0AC: D8EC8E00 9C000009
	ds_read_b64 v[158:159], v9 offset:36480                    // 00000002A0B4: D8EC8E80 9E000009
	v_mov_b32_dpp v64, v42 row_shr:4 row_mask:0xf bank_mask:0xf// 00000002A0BC: 7E8002FA FF01142A
	v_mov_b32_dpp v65, v42 row_shl:4 row_mask:0xf bank_mask:0xf// 00000002A0C4: 7E8202FA FF01042A
	v_cndmask_b32_e64 v248, v42, v64, s[44:45]                 // 00000002A0CC: D10000F8 00B2812A
	v_cndmask_b32_e64 v249, v65, v42, s[44:45]                 // 00000002A0D4: D10000F9 00B25541
	v_mov_b32_dpp v64, v248 row_shr:8 row_mask:0xf bank_mask:0xf// 00000002A0DC: 7E8002FA FF0118F8
	v_mov_b32_dpp v65, v248 row_shl:8 row_mask:0xf bank_mask:0xf// 00000002A0E4: 7E8202FA FF0108F8
	v_mov_b32_dpp v66, v249 row_shr:8 row_mask:0xf bank_mask:0xf// 00000002A0EC: 7E8402FA FF0118F9
	v_mov_b32_dpp v67, v249 row_shl:8 row_mask:0xf bank_mask:0xf// 00000002A0F4: 7E8602FA FF0108F9
	v_mov_b32_e32 v68, v248                                    // 00000002A0FC: 7E8803F8
	v_mov_b32_e32 v69, v249                                    // 00000002A100: 7E8A03F9
	v_cndmask_b32_e64 v248, v68, v64, s[42:43]                 // 00000002A104: D10000F8 00AA8144
	v_cndmask_b32_e64 v250, v68, v65, s[78:79]                 // 00000002A10C: D10000FA 013A8344
	v_cndmask_b32_e64 v249, v69, v66, s[42:43]                 // 00000002A114: D10000F9 00AA8545
	v_cndmask_b32_e64 v251, v69, v67, s[78:79]                 // 00000002A11C: D10000FB 013A8745
	v_mov_b32_dpp v64, v57 row_shr:4 row_mask:0xf bank_mask:0xf// 00000002A124: 7E8002FA FF011439
	v_mov_b32_dpp v65, v57 row_shl:4 row_mask:0xf bank_mask:0xf// 00000002A12C: 7E8202FA FF010439
	v_cndmask_b32_e64 v252, v57, v64, s[44:45]                 // 00000002A134: D10000FC 00B28139
	v_cndmask_b32_e64 v253, v65, v57, s[44:45]                 // 00000002A13C: D10000FD 00B27341
	v_mov_b32_dpp v64, v252 row_shr:8 row_mask:0xf bank_mask:0xf// 00000002A144: 7E8002FA FF0118FC
	v_mov_b32_dpp v65, v252 row_shl:8 row_mask:0xf bank_mask:0xf// 00000002A14C: 7E8202FA FF0108FC
	v_mov_b32_dpp v66, v253 row_shr:8 row_mask:0xf bank_mask:0xf// 00000002A154: 7E8402FA FF0118FD
	v_mov_b32_dpp v67, v253 row_shl:8 row_mask:0xf bank_mask:0xf// 00000002A15C: 7E8602FA FF0108FD
	v_mov_b32_e32 v68, v252                                    // 00000002A164: 7E8803FC
	v_mov_b32_e32 v69, v253                                    // 00000002A168: 7E8A03FD
	v_cndmask_b32_e64 v252, v68, v64, s[42:43]                 // 00000002A16C: D10000FC 00AA8144
	v_cndmask_b32_e64 v254, v68, v65, s[78:79]                 // 00000002A174: D10000FE 013A8344
	v_cndmask_b32_e64 v253, v69, v66, s[42:43]                 // 00000002A17C: D10000FD 00AA8545
	v_cndmask_b32_e64 v255, v69, v67, s[78:79]                 // 00000002A184: D10000FF 013A8745
	v_mul_f32_e32 v160, v21, v160                              // 00000002A18C: 0B414115
	v_mul_f32_e32 v161, v21, v161                              // 00000002A190: 0B434315
	v_mul_f32_e32 v162, v21, v162                              // 00000002A194: 0B454515
	v_mul_f32_e32 v163, v21, v163                              // 00000002A198: 0B474715
	v_mul_f32_e32 v164, v21, v164                              // 00000002A19C: 0B494915
	v_mul_f32_e32 v165, v21, v165                              // 00000002A1A0: 0B4B4B15
	v_mul_f32_e32 v166, v21, v166                              // 00000002A1A4: 0B4D4D15
	v_mul_f32_e32 v167, v21, v167                              // 00000002A1A8: 0B4F4F15
	v_mul_f32_e32 v168, v21, v168                              // 00000002A1AC: 0B515115
	v_mul_f32_e32 v169, v21, v169                              // 00000002A1B0: 0B535315
	v_mul_f32_e32 v170, v21, v170                              // 00000002A1B4: 0B555515
	v_mul_f32_e32 v171, v21, v171                              // 00000002A1B8: 0B575715
	v_mul_f32_e32 v172, v21, v172                              // 00000002A1BC: 0B595915
	v_mul_f32_e32 v173, v21, v173                              // 00000002A1C0: 0B5B5B15
	v_mul_f32_e32 v174, v21, v174                              // 00000002A1C4: 0B5D5D15
	v_mul_f32_e32 v175, v21, v175                              // 00000002A1C8: 0B5F5F15
	v_mul_f32_dpp v160, v248, v160 quad_perm:[0,0,0,0] row_mask:0xf bank_mask:0xf// 00000002A1CC: 0B4140FA FF0000F8
	v_mul_f32_dpp v161, v248, v161 quad_perm:[1,1,1,1] row_mask:0xf bank_mask:0xf// 00000002A1D4: 0B4342FA FF0055F8
	v_mul_f32_dpp v162, v248, v162 quad_perm:[2,2,2,2] row_mask:0xf bank_mask:0xf// 00000002A1DC: 0B4544FA FF00AAF8
	v_mul_f32_dpp v163, v248, v163 quad_perm:[3,3,3,3] row_mask:0xf bank_mask:0xf// 00000002A1E4: 0B4746FA FF00FFF8
	v_mul_f32_dpp v164, v249, v164 quad_perm:[0,0,0,0] row_mask:0xf bank_mask:0xf// 00000002A1EC: 0B4948FA FF0000F9
	v_mul_f32_dpp v165, v249, v165 quad_perm:[1,1,1,1] row_mask:0xf bank_mask:0xf// 00000002A1F4: 0B4B4AFA FF0055F9
	v_mul_f32_dpp v166, v249, v166 quad_perm:[2,2,2,2] row_mask:0xf bank_mask:0xf// 00000002A1FC: 0B4D4CFA FF00AAF9
	v_mul_f32_dpp v167, v249, v167 quad_perm:[3,3,3,3] row_mask:0xf bank_mask:0xf// 00000002A204: 0B4F4EFA FF00FFF9
	v_mul_f32_dpp v168, v250, v168 quad_perm:[0,0,0,0] row_mask:0xf bank_mask:0xf// 00000002A20C: 0B5150FA FF0000FA
	v_mul_f32_dpp v169, v250, v169 quad_perm:[1,1,1,1] row_mask:0xf bank_mask:0xf// 00000002A214: 0B5352FA FF0055FA
	v_mul_f32_dpp v170, v250, v170 quad_perm:[2,2,2,2] row_mask:0xf bank_mask:0xf// 00000002A21C: 0B5554FA FF00AAFA
	v_mul_f32_dpp v171, v250, v171 quad_perm:[3,3,3,3] row_mask:0xf bank_mask:0xf// 00000002A224: 0B5756FA FF00FFFA
	v_mul_f32_dpp v172, v251, v172 quad_perm:[0,0,0,0] row_mask:0xf bank_mask:0xf// 00000002A22C: 0B5958FA FF0000FB
	v_mul_f32_dpp v173, v251, v173 quad_perm:[1,1,1,1] row_mask:0xf bank_mask:0xf// 00000002A234: 0B5B5AFA FF0055FB
	v_mul_f32_dpp v174, v251, v174 quad_perm:[2,2,2,2] row_mask:0xf bank_mask:0xf// 00000002A23C: 0B5D5CFA FF00AAFB
	v_mul_f32_dpp v175, v251, v175 quad_perm:[3,3,3,3] row_mask:0xf bank_mask:0xf// 00000002A244: 0B5F5EFA FF00FFFB
	s_cmp_le_i32 s90, s89                                      // 00000002A24C: BF05595A
	s_cbranch_scc1 label_A086                                  // 00000002A250: BF850071
	v_mov_b32_e32 v66, 0xff800000                              // 00000002A254: 7E8402FF FF800000
	s_mov_b32 s60, s90                                         // 00000002A25C: BEBC005A
	s_add_u32 s61, s89, 0xff                                   // 00000002A260: 803DFF59 000000FF
	v_mov_b32_e32 v64, s61                                     // 00000002A268: 7E80023D
	v_lshrrev_b32_e32 v240, 4, v0                              // 00000002A26C: 21E00084
	v_mul_i32_i24_e32 v240, 4, v240                            // 00000002A270: 0DE1E084
	v_add_u32_e32 v240, s60, v240                              // 00000002A274: 69E1E03C
	s_mov_b32 s61, 3                                           // 00000002A278: BEBD0083
	s_mul_i32 s60, 16, s7                                      // 00000002A27C: 923C0790
	v_sub_u32_e64 v240, v240, s61                              // 00000002A280: D13500F0 00007BF0
	v_add_u32_e32 v240, s60, v240                              // 00000002A288: 69E1E03C
	v_add_u32_e32 v241, 1, v240                                // 00000002A28C: 69E3E081
	v_add_u32_e32 v242, 2, v240                                // 00000002A290: 69E5E082
	v_add_u32_e32 v243, 3, v240                                // 00000002A294: 69E7E083
	v_cmp_le_u32_e64 s[40:41], v240, v64                       // 00000002A298: D0CB0028 000281F0
	v_add_u32_e32 v240, 64, v240                               // 00000002A2A0: 69E1E0C0
	s_nop 0                                                    // 00000002A2A4: BF800000
	v_cndmask_b32_e64 v160, v66, v160, s[40:41]                // 00000002A2A8: D10000A0 00A34142
	v_cmp_le_u32_e64 s[40:41], v241, v64                       // 00000002A2B0: D0CB0028 000281F1
	v_add_u32_e32 v241, 64, v241                               // 00000002A2B8: 69E3E2C0
	s_nop 0                                                    // 00000002A2BC: BF800000
	v_cndmask_b32_e64 v161, v66, v161, s[40:41]                // 00000002A2C0: D10000A1 00A34342
	v_cmp_le_u32_e64 s[40:41], v242, v64                       // 00000002A2C8: D0CB0028 000281F2
	v_add_u32_e32 v242, 64, v242                               // 00000002A2D0: 69E5E4C0
	s_nop 0                                                    // 00000002A2D4: BF800000
	v_cndmask_b32_e64 v162, v66, v162, s[40:41]                // 00000002A2D8: D10000A2 00A34542
	v_cmp_le_u32_e64 s[40:41], v243, v64                       // 00000002A2E0: D0CB0028 000281F3
	v_add_u32_e32 v243, 64, v243                               // 00000002A2E8: 69E7E6C0
	s_nop 0                                                    // 00000002A2EC: BF800000
	v_cndmask_b32_e64 v163, v66, v163, s[40:41]                // 00000002A2F0: D10000A3 00A34742
	v_cmp_le_u32_e64 s[40:41], v240, v64                       // 00000002A2F8: D0CB0028 000281F0
	v_add_u32_e32 v240, 64, v240                               // 00000002A300: 69E1E0C0
	s_nop 0                                                    // 00000002A304: BF800000
	v_cndmask_b32_e64 v164, v66, v164, s[40:41]                // 00000002A308: D10000A4 00A34942
	v_cmp_le_u32_e64 s[40:41], v241, v64                       // 00000002A310: D0CB0028 000281F1
	v_add_u32_e32 v241, 64, v241                               // 00000002A318: 69E3E2C0
	s_nop 0                                                    // 00000002A31C: BF800000
	v_cndmask_b32_e64 v165, v66, v165, s[40:41]                // 00000002A320: D10000A5 00A34B42
	v_cmp_le_u32_e64 s[40:41], v242, v64                       // 00000002A328: D0CB0028 000281F2
	v_add_u32_e32 v242, 64, v242                               // 00000002A330: 69E5E4C0
	s_nop 0                                                    // 00000002A334: BF800000
	v_cndmask_b32_e64 v166, v66, v166, s[40:41]                // 00000002A338: D10000A6 00A34D42
	v_cmp_le_u32_e64 s[40:41], v243, v64                       // 00000002A340: D0CB0028 000281F3
	v_add_u32_e32 v243, 64, v243                               // 00000002A348: 69E7E6C0
	s_nop 0                                                    // 00000002A34C: BF800000
	v_cndmask_b32_e64 v167, v66, v167, s[40:41]                // 00000002A350: D10000A7 00A34F42
	v_cmp_le_u32_e64 s[40:41], v240, v64                       // 00000002A358: D0CB0028 000281F0
	v_add_u32_e32 v240, 64, v240                               // 00000002A360: 69E1E0C0
	s_nop 0                                                    // 00000002A364: BF800000
	v_cndmask_b32_e64 v168, v66, v168, s[40:41]                // 00000002A368: D10000A8 00A35142
	v_cmp_le_u32_e64 s[40:41], v241, v64                       // 00000002A370: D0CB0028 000281F1
	v_add_u32_e32 v241, 64, v241                               // 00000002A378: 69E3E2C0
	s_nop 0                                                    // 00000002A37C: BF800000
	v_cndmask_b32_e64 v169, v66, v169, s[40:41]                // 00000002A380: D10000A9 00A35342
	v_cmp_le_u32_e64 s[40:41], v242, v64                       // 00000002A388: D0CB0028 000281F2
	v_add_u32_e32 v242, 64, v242                               // 00000002A390: 69E5E4C0
	s_nop 0                                                    // 00000002A394: BF800000
	v_cndmask_b32_e64 v170, v66, v170, s[40:41]                // 00000002A398: D10000AA 00A35542
	v_cmp_le_u32_e64 s[40:41], v243, v64                       // 00000002A3A0: D0CB0028 000281F3
	v_add_u32_e32 v243, 64, v243                               // 00000002A3A8: 69E7E6C0
	s_nop 0                                                    // 00000002A3AC: BF800000
	v_cndmask_b32_e64 v171, v66, v171, s[40:41]                // 00000002A3B0: D10000AB 00A35742
	v_cmp_le_u32_e64 s[40:41], v240, v64                       // 00000002A3B8: D0CB0028 000281F0
	v_add_u32_e32 v240, 64, v240                               // 00000002A3C0: 69E1E0C0
	s_nop 0                                                    // 00000002A3C4: BF800000
	v_cndmask_b32_e64 v172, v66, v172, s[40:41]                // 00000002A3C8: D10000AC 00A35942
	v_cmp_le_u32_e64 s[40:41], v241, v64                       // 00000002A3D0: D0CB0028 000281F1
	v_add_u32_e32 v241, 64, v241                               // 00000002A3D8: 69E3E2C0
	s_nop 0                                                    // 00000002A3DC: BF800000
	v_cndmask_b32_e64 v173, v66, v173, s[40:41]                // 00000002A3E0: D10000AD 00A35B42
	v_cmp_le_u32_e64 s[40:41], v242, v64                       // 00000002A3E8: D0CB0028 000281F2
	v_add_u32_e32 v242, 64, v242                               // 00000002A3F0: 69E5E4C0
	s_nop 0                                                    // 00000002A3F4: BF800000
	v_cndmask_b32_e64 v174, v66, v174, s[40:41]                // 00000002A3F8: D10000AE 00A35D42
	v_cmp_le_u32_e64 s[40:41], v243, v64                       // 00000002A400: D0CB0028 000281F3
	v_add_u32_e32 v243, 64, v243                               // 00000002A408: 69E7E6C0
	s_nop 0                                                    // 00000002A40C: BF800000
	v_cndmask_b32_e64 v175, v66, v175, s[40:41]                // 00000002A410: D10000AF 00A35F42

000000000002a418 <label_A086>:
	s_add_u32 s90, s91, s90                                    // 00000002A418: 805A5A5B
	s_and_b32 s60, s72, 0xff                                   // 00000002A41C: 863CFF48 000000FF
	v_mov_b32_e32 v65, s60                                     // 00000002A424: 7E82023C
	v_lshrrev_b32_e32 v240, 4, v0                              // 00000002A428: 21E00084
	v_mul_i32_i24_e32 v240, 4, v240                            // 00000002A42C: 0DE1E084
	s_mul_i32 s60, s7, 16                                      // 00000002A430: 923C9007
	v_add_u32_e32 v240, s60, v240                              // 00000002A434: 69E1E03C
	v_add_u32_e32 v241, 1, v240                                // 00000002A438: 69E3E081
	v_add_u32_e32 v242, 2, v240                                // 00000002A43C: 69E5E082
	v_add_u32_e32 v243, 3, v240                                // 00000002A440: 69E7E083
	v_mov_b32_e32 v64, 0xff800000                              // 00000002A444: 7E8002FF FF800000
	v_cmp_lt_u32_e64 s[40:41], v240, v65                       // 00000002A44C: D0C90028 000283F0
	v_add_u32_e32 v240, 64, v240                               // 00000002A454: 69E1E0C0
	s_nop 0                                                    // 00000002A458: BF800000
	v_cndmask_b32_e64 v160, v64, v160, s[40:41]                // 00000002A45C: D10000A0 00A34140
	v_cmp_lt_u32_e64 s[40:41], v241, v65                       // 00000002A464: D0C90028 000283F1
	v_add_u32_e32 v241, 64, v241                               // 00000002A46C: 69E3E2C0
	s_nop 0                                                    // 00000002A470: BF800000
	v_cndmask_b32_e64 v161, v64, v161, s[40:41]                // 00000002A474: D10000A1 00A34340
	v_cmp_lt_u32_e64 s[40:41], v242, v65                       // 00000002A47C: D0C90028 000283F2
	v_add_u32_e32 v242, 64, v242                               // 00000002A484: 69E5E4C0
	s_nop 0                                                    // 00000002A488: BF800000
	v_cndmask_b32_e64 v162, v64, v162, s[40:41]                // 00000002A48C: D10000A2 00A34540
	v_cmp_lt_u32_e64 s[40:41], v243, v65                       // 00000002A494: D0C90028 000283F3
	v_add_u32_e32 v243, 64, v243                               // 00000002A49C: 69E7E6C0
	s_nop 0                                                    // 00000002A4A0: BF800000
	v_cndmask_b32_e64 v163, v64, v163, s[40:41]                // 00000002A4A4: D10000A3 00A34740
	v_cmp_lt_u32_e64 s[40:41], v240, v65                       // 00000002A4AC: D0C90028 000283F0
	v_add_u32_e32 v240, 64, v240                               // 00000002A4B4: 69E1E0C0
	s_nop 0                                                    // 00000002A4B8: BF800000
	v_cndmask_b32_e64 v164, v64, v164, s[40:41]                // 00000002A4BC: D10000A4 00A34940
	v_cmp_lt_u32_e64 s[40:41], v241, v65                       // 00000002A4C4: D0C90028 000283F1
	v_add_u32_e32 v241, 64, v241                               // 00000002A4CC: 69E3E2C0
	s_nop 0                                                    // 00000002A4D0: BF800000
	v_cndmask_b32_e64 v165, v64, v165, s[40:41]                // 00000002A4D4: D10000A5 00A34B40
	v_cmp_lt_u32_e64 s[40:41], v242, v65                       // 00000002A4DC: D0C90028 000283F2
	v_add_u32_e32 v242, 64, v242                               // 00000002A4E4: 69E5E4C0
	s_nop 0                                                    // 00000002A4E8: BF800000
	v_cndmask_b32_e64 v166, v64, v166, s[40:41]                // 00000002A4EC: D10000A6 00A34D40
	v_cmp_lt_u32_e64 s[40:41], v243, v65                       // 00000002A4F4: D0C90028 000283F3
	v_add_u32_e32 v243, 64, v243                               // 00000002A4FC: 69E7E6C0
	s_nop 0                                                    // 00000002A500: BF800000
	v_cndmask_b32_e64 v167, v64, v167, s[40:41]                // 00000002A504: D10000A7 00A34F40
	v_cmp_lt_u32_e64 s[40:41], v240, v65                       // 00000002A50C: D0C90028 000283F0
	v_add_u32_e32 v240, 64, v240                               // 00000002A514: 69E1E0C0
	s_nop 0                                                    // 00000002A518: BF800000
	v_cndmask_b32_e64 v168, v64, v168, s[40:41]                // 00000002A51C: D10000A8 00A35140
	v_cmp_lt_u32_e64 s[40:41], v241, v65                       // 00000002A524: D0C90028 000283F1
	v_add_u32_e32 v241, 64, v241                               // 00000002A52C: 69E3E2C0
	s_nop 0                                                    // 00000002A530: BF800000
	v_cndmask_b32_e64 v169, v64, v169, s[40:41]                // 00000002A534: D10000A9 00A35340
	v_cmp_lt_u32_e64 s[40:41], v242, v65                       // 00000002A53C: D0C90028 000283F2
	v_add_u32_e32 v242, 64, v242                               // 00000002A544: 69E5E4C0
	s_nop 0                                                    // 00000002A548: BF800000
	v_cndmask_b32_e64 v170, v64, v170, s[40:41]                // 00000002A54C: D10000AA 00A35540
	v_cmp_lt_u32_e64 s[40:41], v243, v65                       // 00000002A554: D0C90028 000283F3
	v_add_u32_e32 v243, 64, v243                               // 00000002A55C: 69E7E6C0
	s_nop 0                                                    // 00000002A560: BF800000
	v_cndmask_b32_e64 v171, v64, v171, s[40:41]                // 00000002A564: D10000AB 00A35740
	v_cmp_lt_u32_e64 s[40:41], v240, v65                       // 00000002A56C: D0C90028 000283F0
	v_add_u32_e32 v240, 64, v240                               // 00000002A574: 69E1E0C0
	s_nop 0                                                    // 00000002A578: BF800000
	v_cndmask_b32_e64 v172, v64, v172, s[40:41]                // 00000002A57C: D10000AC 00A35940
	v_cmp_lt_u32_e64 s[40:41], v241, v65                       // 00000002A584: D0C90028 000283F1
	v_add_u32_e32 v241, 64, v241                               // 00000002A58C: 69E3E2C0
	s_nop 0                                                    // 00000002A590: BF800000
	v_cndmask_b32_e64 v173, v64, v173, s[40:41]                // 00000002A594: D10000AD 00A35B40
	v_cmp_lt_u32_e64 s[40:41], v242, v65                       // 00000002A59C: D0C90028 000283F2
	v_add_u32_e32 v242, 64, v242                               // 00000002A5A4: 69E5E4C0
	s_nop 0                                                    // 00000002A5A8: BF800000
	v_cndmask_b32_e64 v174, v64, v174, s[40:41]                // 00000002A5AC: D10000AE 00A35D40
	v_cmp_lt_u32_e64 s[40:41], v243, v65                       // 00000002A5B4: D0C90028 000283F3
	v_add_u32_e32 v243, 64, v243                               // 00000002A5BC: 69E7E6C0
	s_nop 0                                                    // 00000002A5C0: BF800000
	v_cndmask_b32_e64 v175, v64, v175, s[40:41]                // 00000002A5C4: D10000AF 00A35F40
	v_mov_b32_e32 v48, v160                                    // 00000002A5CC: 7E6003A0
	v_max3_f32 v48, v160, v161, v48                            // 00000002A5D0: D1D30030 04C343A0
	v_max3_f32 v48, v162, v163, v48                            // 00000002A5D8: D1D30030 04C347A2
	v_max3_f32 v48, v164, v165, v48                            // 00000002A5E0: D1D30030 04C34BA4
	v_max3_f32 v48, v166, v167, v48                            // 00000002A5E8: D1D30030 04C34FA6
	v_max3_f32 v48, v168, v169, v48                            // 00000002A5F0: D1D30030 04C353A8
	v_max3_f32 v48, v170, v171, v48                            // 00000002A5F8: D1D30030 04C357AA
	v_max3_f32 v48, v172, v173, v48                            // 00000002A600: D1D30030 04C35BAC
	v_max3_f32 v48, v174, v175, v48                            // 00000002A608: D1D30030 04C35FAE
	ds_write_b32 v8, v48 offset:16896                          // 00000002A610: D81A4200 00003008
	v_mul_f32_e32 v232, v52, v232                              // 00000002A618: 0BD1D134
	v_mul_f32_e32 v233, v52, v233                              // 00000002A61C: 0BD3D334
	v_mul_f32_e32 v234, v52, v234                              // 00000002A620: 0BD5D534
	v_mul_f32_e32 v235, v52, v235                              // 00000002A624: 0BD7D734
	v_mul_f32_e32 v236, v52, v236                              // 00000002A628: 0BD9D934
	v_mul_f32_e32 v237, v52, v237                              // 00000002A62C: 0BDBDB34
	v_mul_f32_e32 v238, v52, v238                              // 00000002A630: 0BDDDD34
	v_mul_f32_e32 v239, v52, v239                              // 00000002A634: 0BDFDF34
	s_waitcnt lgkmcnt(0)                                       // 00000002A638: BF8CC07F
	s_barrier                                                  // 00000002A63C: BF8A0000
	ds_read_b32 v64, v7 offset:16896                           // 00000002A640: D86C4200 40000007
	ds_read_b32 v65, v7 offset:16960                           // 00000002A648: D86C4240 41000007
	ds_read_b32 v66, v7 offset:17024                           // 00000002A650: D86C4280 42000007
	ds_read_b32 v67, v7 offset:17088                           // 00000002A658: D86C42C0 43000007
	ds_read_b32 v68, v7 offset:17152                           // 00000002A660: D86C4300 44000007
	ds_read_b32 v69, v7 offset:17216                           // 00000002A668: D86C4340 45000007
	ds_read_b32 v70, v7 offset:17280                           // 00000002A670: D86C4380 46000007
	ds_read_b32 v71, v7 offset:17344                           // 00000002A678: D86C43C0 47000007
	ds_read_b32 v72, v7 offset:17408                           // 00000002A680: D86C4400 48000007
	ds_read_b32 v73, v7 offset:17472                           // 00000002A688: D86C4440 49000007
	ds_read_b32 v74, v7 offset:17536                           // 00000002A690: D86C4480 4A000007
	ds_read_b32 v75, v7 offset:17600                           // 00000002A698: D86C44C0 4B000007
	ds_read_b32 v76, v7 offset:17664                           // 00000002A6A0: D86C4500 4C000007
	ds_read_b32 v77, v7 offset:17728                           // 00000002A6A8: D86C4540 4D000007
	ds_read_b32 v78, v7 offset:17792                           // 00000002A6B0: D86C4580 4E000007
	ds_read_b32 v79, v7 offset:17856                           // 00000002A6B8: D86C45C0 4F000007
	v_mul_f32_e32 v200, v47, v200                              // 00000002A6C0: 0B91912F
	v_mul_f32_e32 v201, v47, v201                              // 00000002A6C4: 0B93932F
	v_mul_f32_e32 v202, v47, v202                              // 00000002A6C8: 0B95952F
	v_mul_f32_e32 v203, v47, v203                              // 00000002A6CC: 0B97972F
	v_mul_f32_e32 v204, v47, v204                              // 00000002A6D0: 0B99992F
	v_mul_f32_e32 v205, v47, v205                              // 00000002A6D4: 0B9B9B2F
	v_mul_f32_e32 v206, v47, v206                              // 00000002A6D8: 0B9D9D2F
	v_mul_f32_e32 v207, v47, v207                              // 00000002A6DC: 0B9F9F2F
	s_waitcnt lgkmcnt(0)                                       // 00000002A6E0: BF8CC07F
	v_max3_f32 v48, v64, v65, v48                              // 00000002A6E4: D1D30030 04C28340
	v_max3_f32 v48, v66, v67, v48                              // 00000002A6EC: D1D30030 04C28742
	v_max3_f32 v48, v68, v69, v48                              // 00000002A6F4: D1D30030 04C28B44
	v_max3_f32 v48, v70, v71, v48                              // 00000002A6FC: D1D30030 04C28F46
	v_max3_f32 v48, v72, v73, v48                              // 00000002A704: D1D30030 04C29348
	v_max3_f32 v48, v74, v75, v48                              // 00000002A70C: D1D30030 04C2974A
	v_max3_f32 v48, v76, v77, v48                              // 00000002A714: D1D30030 04C29B4C
	v_max3_f32 v48, v78, v79, v48                              // 00000002A71C: D1D30030 04C29F4E
	v_mov_b32_e32 v64, 0xff800000                              // 00000002A724: 7E8002FF FF800000
	v_cmp_eq_u32_e64 s[40:41], v64, v14                        // 00000002A72C: D0CA0028 00021D40
	s_nop 1                                                    // 00000002A734: BF800001
	v_max_f32_e32 v15, v48, v14                                // 00000002A738: 161E1D30
	v_mul_f32_e32 v53, s64, v15                                // 00000002A73C: 0A6A1E40
	v_fma_f32 v160, v160, s64, -v53                            // 00000002A740: D1CB00A0 84D481A0
	v_fma_f32 v161, v161, s64, -v53                            // 00000002A748: D1CB00A1 84D481A1
	v_fma_f32 v162, v162, s64, -v53                            // 00000002A750: D1CB00A2 84D481A2
	v_fma_f32 v163, v163, s64, -v53                            // 00000002A758: D1CB00A3 84D481A3
	v_fma_f32 v164, v164, s64, -v53                            // 00000002A760: D1CB00A4 84D481A4
	v_fma_f32 v165, v165, s64, -v53                            // 00000002A768: D1CB00A5 84D481A5
	v_fma_f32 v166, v166, s64, -v53                            // 00000002A770: D1CB00A6 84D481A6
	v_fma_f32 v167, v167, s64, -v53                            // 00000002A778: D1CB00A7 84D481A7
	v_fma_f32 v168, v168, s64, -v53                            // 00000002A780: D1CB00A8 84D481A8
	v_fma_f32 v169, v169, s64, -v53                            // 00000002A788: D1CB00A9 84D481A9
	v_fma_f32 v170, v170, s64, -v53                            // 00000002A790: D1CB00AA 84D481AA
	v_fma_f32 v171, v171, s64, -v53                            // 00000002A798: D1CB00AB 84D481AB
	v_fma_f32 v172, v172, s64, -v53                            // 00000002A7A0: D1CB00AC 84D481AC
	v_fma_f32 v173, v173, s64, -v53                            // 00000002A7A8: D1CB00AD 84D481AD
	v_fma_f32 v174, v174, s64, -v53                            // 00000002A7B0: D1CB00AE 84D481AE
	v_fma_f32 v175, v175, s64, -v53                            // 00000002A7B8: D1CB00AF 84D481AF
	v_exp_f32_e32 v160, v160                                   // 00000002A7C0: 7F4041A0
	v_exp_f32_e32 v161, v161                                   // 00000002A7C4: 7F4241A1
	v_exp_f32_e32 v162, v162                                   // 00000002A7C8: 7F4441A2
	v_exp_f32_e32 v163, v163                                   // 00000002A7CC: 7F4641A3
	v_exp_f32_e32 v164, v164                                   // 00000002A7D0: 7F4841A4
	v_exp_f32_e32 v165, v165                                   // 00000002A7D4: 7F4A41A5
	v_exp_f32_e32 v166, v166                                   // 00000002A7D8: 7F4C41A6
	v_exp_f32_e32 v167, v167                                   // 00000002A7DC: 7F4E41A7
	v_exp_f32_e32 v168, v168                                   // 00000002A7E0: 7F5041A8
	v_exp_f32_e32 v169, v169                                   // 00000002A7E4: 7F5241A9
	v_exp_f32_e32 v170, v170                                   // 00000002A7E8: 7F5441AA
	v_exp_f32_e32 v171, v171                                   // 00000002A7EC: 7F5641AB
	v_exp_f32_e32 v172, v172                                   // 00000002A7F0: 7F5841AC
	v_exp_f32_e32 v173, v173                                   // 00000002A7F4: 7F5A41AD
	v_exp_f32_e32 v174, v174                                   // 00000002A7F8: 7F5C41AE
	v_exp_f32_e32 v175, v175                                   // 00000002A7FC: 7F5E41AF
	v_mul_f32_dpp v240, v252, v160 quad_perm:[0,0,0,0] row_mask:0xf bank_mask:0xf// 00000002A800: 0BE140FA FF0000FC
	v_mul_f32_dpp v241, v252, v161 quad_perm:[1,1,1,1] row_mask:0xf bank_mask:0xf// 00000002A808: 0BE342FA FF0055FC
	v_mul_f32_dpp v242, v252, v162 quad_perm:[2,2,2,2] row_mask:0xf bank_mask:0xf// 00000002A810: 0BE544FA FF00AAFC
	v_mul_f32_dpp v243, v252, v163 quad_perm:[3,3,3,3] row_mask:0xf bank_mask:0xf// 00000002A818: 0BE746FA FF00FFFC
	v_mul_f32_dpp v244, v253, v164 quad_perm:[0,0,0,0] row_mask:0xf bank_mask:0xf// 00000002A820: 0BE948FA FF0000FD
	v_mul_f32_dpp v245, v253, v165 quad_perm:[1,1,1,1] row_mask:0xf bank_mask:0xf// 00000002A828: 0BEB4AFA FF0055FD
	v_mul_f32_dpp v246, v253, v166 quad_perm:[2,2,2,2] row_mask:0xf bank_mask:0xf// 00000002A830: 0BED4CFA FF00AAFD
	v_mul_f32_dpp v247, v253, v167 quad_perm:[3,3,3,3] row_mask:0xf bank_mask:0xf// 00000002A838: 0BEF4EFA FF00FFFD
	v_mul_f32_dpp v248, v254, v168 quad_perm:[0,0,0,0] row_mask:0xf bank_mask:0xf// 00000002A840: 0BF150FA FF0000FE
	v_mul_f32_dpp v249, v254, v169 quad_perm:[1,1,1,1] row_mask:0xf bank_mask:0xf// 00000002A848: 0BF352FA FF0055FE
	v_mul_f32_dpp v250, v254, v170 quad_perm:[2,2,2,2] row_mask:0xf bank_mask:0xf// 00000002A850: 0BF554FA FF00AAFE
	v_mul_f32_dpp v251, v254, v171 quad_perm:[3,3,3,3] row_mask:0xf bank_mask:0xf// 00000002A858: 0BF756FA FF00FFFE
	v_mul_f32_dpp v252, v255, v172 quad_perm:[0,0,0,0] row_mask:0xf bank_mask:0xf// 00000002A860: 0BF958FA FF0000FF
	v_mul_f32_dpp v253, v255, v173 quad_perm:[1,1,1,1] row_mask:0xf bank_mask:0xf// 00000002A868: 0BFB5AFA FF0055FF
	v_mul_f32_dpp v254, v255, v174 quad_perm:[2,2,2,2] row_mask:0xf bank_mask:0xf// 00000002A870: 0BFD5CFA FF00AAFF
	v_mul_f32_dpp v255, v255, v175 quad_perm:[3,3,3,3] row_mask:0xf bank_mask:0xf// 00000002A878: 0BFF5EFA FF00FFFF
	v_mov_b32_e32 v48, 0x358637bd                              // 00000002A880: 7E6002FF 358637BD
	v_max3_f32 v48, |v240|, |v241|, v48                        // 00000002A888: D1D30330 04C3E3F0
	v_max3_f32 v48, |v242|, |v243|, v48                        // 00000002A890: D1D30330 04C3E7F2
	v_max3_f32 v48, |v244|, |v245|, v48                        // 00000002A898: D1D30330 04C3EBF4
	v_max3_f32 v48, |v246|, |v247|, v48                        // 00000002A8A0: D1D30330 04C3EFF6
	v_max3_f32 v48, |v248|, |v249|, v48                        // 00000002A8A8: D1D30330 04C3F3F8
	v_max3_f32 v48, |v250|, |v251|, v48                        // 00000002A8B0: D1D30330 04C3F7FA
	v_max3_f32 v48, |v252|, |v253|, v48                        // 00000002A8B8: D1D30330 04C3FBFC
	v_max3_f32 v48, |v254|, |v255|, v48                        // 00000002A8C0: D1D30330 04C3FFFE
	ds_write_b32 v8, v48 offset:20992                          // 00000002A8C8: D81A5200 00003008
	v_sub_f32_e32 v52, v14, v15                                // 00000002A8D0: 04681F0E
	v_cndmask_b32_e64 v52, v52, 0, s[40:41]                    // 00000002A8D4: D1000034 00A10134
	v_mov_b32_e32 v14, v15                                     // 00000002A8DC: 7E1C030F
	v_mul_f32_e32 v52, s64, v52                                // 00000002A8E0: 0A686840
	v_exp_f32_e32 v52, v52                                     // 00000002A8E4: 7E684134
	s_waitcnt lgkmcnt(0)                                       // 00000002A8E8: BF8CC07F
	s_barrier                                                  // 00000002A8EC: BF8A0000
	ds_read_b32 v64, v7 offset:20992                           // 00000002A8F0: D86C5200 40000007
	ds_read_b32 v65, v7 offset:21056                           // 00000002A8F8: D86C5240 41000007
	ds_read_b32 v66, v7 offset:21120                           // 00000002A900: D86C5280 42000007
	ds_read_b32 v67, v7 offset:21184                           // 00000002A908: D86C52C0 43000007
	ds_read_b32 v68, v7 offset:21248                           // 00000002A910: D86C5300 44000007
	ds_read_b32 v69, v7 offset:21312                           // 00000002A918: D86C5340 45000007
	ds_read_b32 v70, v7 offset:21376                           // 00000002A920: D86C5380 46000007
	ds_read_b32 v71, v7 offset:21440                           // 00000002A928: D86C53C0 47000007
	ds_read_b32 v72, v7 offset:21504                           // 00000002A930: D86C5400 48000007
	ds_read_b32 v73, v7 offset:21568                           // 00000002A938: D86C5440 49000007
	ds_read_b32 v74, v7 offset:21632                           // 00000002A940: D86C5480 4A000007
	ds_read_b32 v75, v7 offset:21696                           // 00000002A948: D86C54C0 4B000007
	ds_read_b32 v76, v7 offset:21760                           // 00000002A950: D86C5500 4C000007
	ds_read_b32 v77, v7 offset:21824                           // 00000002A958: D86C5540 4D000007
	ds_read_b32 v78, v7 offset:21888                           // 00000002A960: D86C5580 4E000007
	ds_read_b32 v79, v7 offset:21952                           // 00000002A968: D86C55C0 4F000007
	v_mul_f32_e32 v41, v52, v41                                // 00000002A970: 0A525334
	v_mov_b32_e32 v15, v160                                    // 00000002A974: 7E1E03A0
	v_add_f32_e32 v15, v161, v15                               // 00000002A978: 021E1FA1
	v_add_f32_e32 v15, v162, v15                               // 00000002A97C: 021E1FA2
	v_add_f32_e32 v15, v163, v15                               // 00000002A980: 021E1FA3
	v_add_f32_e32 v15, v164, v15                               // 00000002A984: 021E1FA4
	v_add_f32_e32 v15, v165, v15                               // 00000002A988: 021E1FA5
	v_add_f32_e32 v15, v166, v15                               // 00000002A98C: 021E1FA6
	v_add_f32_e32 v15, v167, v15                               // 00000002A990: 021E1FA7
	v_add_f32_e32 v15, v168, v15                               // 00000002A994: 021E1FA8
	v_add_f32_e32 v15, v169, v15                               // 00000002A998: 021E1FA9
	v_add_f32_e32 v15, v170, v15                               // 00000002A99C: 021E1FAA
	v_add_f32_e32 v15, v171, v15                               // 00000002A9A0: 021E1FAB
	v_add_f32_e32 v15, v172, v15                               // 00000002A9A4: 021E1FAC
	v_add_f32_e32 v15, v173, v15                               // 00000002A9A8: 021E1FAD
	v_add_f32_e32 v15, v174, v15                               // 00000002A9AC: 021E1FAE
	v_add_f32_e32 v15, v175, v15                               // 00000002A9B0: 021E1FAF
	v_add_f32_e32 v41, v15, v41                                // 00000002A9B4: 0252530F
	s_waitcnt lgkmcnt(0)                                       // 00000002A9B8: BF8CC07F
	v_max3_f32 v48, |v64|, |v65|, v48                          // 00000002A9BC: D1D30330 04C28340
	v_max3_f32 v48, |v66|, |v67|, v48                          // 00000002A9C4: D1D30330 04C28742
	v_max3_f32 v48, |v68|, |v69|, v48                          // 00000002A9CC: D1D30330 04C28B44
	v_max3_f32 v48, |v70|, |v71|, v48                          // 00000002A9D4: D1D30330 04C28F46
	v_max3_f32 v48, |v72|, |v73|, v48                          // 00000002A9DC: D1D30330 04C29348
	v_max3_f32 v48, |v74|, |v75|, v48                          // 00000002A9E4: D1D30330 04C2974A
	v_max3_f32 v48, |v76|, |v77|, v48                          // 00000002A9EC: D1D30330 04C29B4C
	v_max3_f32 v48, |v78|, |v79|, v48                          // 00000002A9F4: D1D30330 04C29F4E
	s_nop 2                                                    // 00000002A9FC: BF800002
	v_rcp_f32_e32 v48, v48                                     // 00000002AA00: 7E604530
	s_nop 1                                                    // 00000002AA04: BF800001
	v_mul_f32_e32 v48, 0x43e00000, v48                         // 00000002AA08: 0A6060FF 43E00000
	v_mul_f32_e32 v160, v48, v240                              // 00000002AA10: 0B41E130
	v_mul_f32_e32 v161, v48, v241                              // 00000002AA14: 0B43E330
	v_mul_f32_e32 v162, v48, v242                              // 00000002AA18: 0B45E530
	v_mul_f32_e32 v163, v48, v243                              // 00000002AA1C: 0B47E730
	v_mul_f32_e32 v164, v48, v244                              // 00000002AA20: 0B49E930
	v_mul_f32_e32 v165, v48, v245                              // 00000002AA24: 0B4BEB30
	v_mul_f32_e32 v166, v48, v246                              // 00000002AA28: 0B4DED30
	v_mul_f32_e32 v167, v48, v247                              // 00000002AA2C: 0B4FEF30
	v_mul_f32_e32 v168, v48, v248                              // 00000002AA30: 0B51F130
	v_mul_f32_e32 v169, v48, v249                              // 00000002AA34: 0B53F330
	v_mul_f32_e32 v170, v48, v250                              // 00000002AA38: 0B55F530
	v_mul_f32_e32 v171, v48, v251                              // 00000002AA3C: 0B57F730
	v_mul_f32_e32 v172, v48, v252                              // 00000002AA40: 0B59F930
	v_mul_f32_e32 v173, v48, v253                              // 00000002AA44: 0B5BFB30
	v_mul_f32_e32 v174, v48, v254                              // 00000002AA48: 0B5DFD30
	v_mul_f32_e32 v175, v48, v255                              // 00000002AA4C: 0B5FFF30
	v_cvt_pk_fp8_f32 v160, v160, v161                          // 00000002AA50: D2A200A0 000343A0
	v_cvt_pk_fp8_f32 v160, v162, v163 op_sel:[0,0,1]           // 00000002AA58: D2A240A0 000347A2
	v_cvt_pk_fp8_f32 v161, v164, v165                          // 00000002AA60: D2A200A1 00034BA4
	v_cvt_pk_fp8_f32 v161, v166, v167 op_sel:[0,0,1]           // 00000002AA68: D2A240A1 00034FA6
	v_cvt_pk_fp8_f32 v162, v168, v169                          // 00000002AA70: D2A200A2 000353A8
	v_cvt_pk_fp8_f32 v162, v170, v171 op_sel:[0,0,1]           // 00000002AA78: D2A240A2 000357AA
	v_cvt_pk_fp8_f32 v163, v172, v173                          // 00000002AA80: D2A200A3 00035BAC
	v_cvt_pk_fp8_f32 v163, v174, v175 op_sel:[0,0,1]           // 00000002AA88: D2A240A3 00035FAE
	ds_write_b32 v10, v160 offset:37376                        // 00000002AA90: D81A9200 0000A00A
	ds_write_b32 v10, v161 offset:38400                        // 00000002AA98: D81A9600 0000A10A
	ds_write_b32 v10, v162 offset:39424                        // 00000002AAA0: D81A9A00 0000A20A
	ds_write_b32 v10, v163 offset:40448                        // 00000002AAA8: D81A9E00 0000A30A
	v_add_f32_e32 v232, v232, v200                             // 00000002AAB0: 03D191E8
	v_add_f32_e32 v233, v233, v201                             // 00000002AAB4: 03D393E9
	v_add_f32_e32 v234, v234, v202                             // 00000002AAB8: 03D595EA
	v_add_f32_e32 v235, v235, v203                             // 00000002AABC: 03D797EB
	v_add_f32_e32 v236, v236, v204                             // 00000002AAC0: 03D999EC
	v_add_f32_e32 v237, v237, v205                             // 00000002AAC4: 03DB9BED
	v_add_f32_e32 v238, v238, v206                             // 00000002AAC8: 03DD9DEE
	v_add_f32_e32 v239, v239, v207                             // 00000002AACC: 03DF9FEF
	v_rcp_f32_e32 v47, v48                                     // 00000002AAD0: 7E5E4530
	s_waitcnt lgkmcnt(0)                                       // 00000002AAD4: BF8CC07F
	s_barrier                                                  // 00000002AAD8: BF8A0000
	ds_read_b64 v[160:161], v9 offset:37376                    // 00000002AADC: D8EC9200 A0000009
	ds_read_b64 v[162:163], v9 offset:37504                    // 00000002AAE4: D8EC9280 A2000009
	ds_read_b64 v[164:165], v9 offset:38400                    // 00000002AAEC: D8EC9600 A4000009
	ds_read_b64 v[166:167], v9 offset:38528                    // 00000002AAF4: D8EC9680 A6000009
	ds_read_b64 v[168:169], v9 offset:39424                    // 00000002AAFC: D8EC9A00 A8000009
	ds_read_b64 v[170:171], v9 offset:39552                    // 00000002AB04: D8EC9A80 AA000009
	ds_read_b64 v[172:173], v9 offset:40448                    // 00000002AB0C: D8EC9E00 AC000009
	ds_read_b64 v[174:175], v9 offset:40576                    // 00000002AB14: D8EC9E80 AE000009
	s_waitcnt vmcnt(0)                                         // 00000002AB1C: BF8C0F70
	s_barrier                                                  // 00000002AB20: BF8A0000
	v_mfma_f32_16x16x32_fp8_fp8 v[176:179], a[64:65], v[112:113], 0// 00000002AB24: D3F300B0 0A02E140
	v_mfma_f32_16x16x32_fp8_fp8 v[176:179], a[66:67], v[114:115], v[176:179]// 00000002AB2C: D3F300B0 0EC2E542
	v_mfma_f32_16x16x32_fp8_fp8 v[176:179], a[68:69], v[116:117], v[176:179]// 00000002AB34: D3F300B0 0EC2E944
	v_mfma_f32_16x16x32_fp8_fp8 v[176:179], a[70:71], v[118:119], v[176:179]// 00000002AB3C: D3F300B0 0EC2ED46
	v_mfma_f32_16x16x32_fp8_fp8 v[176:179], a[72:73], v[120:121], v[176:179]// 00000002AB44: D3F300B0 0EC2F148
	v_mfma_f32_16x16x32_fp8_fp8 v[176:179], a[74:75], v[122:123], v[176:179]// 00000002AB4C: D3F300B0 0EC2F54A
	v_mfma_f32_16x16x32_fp8_fp8 v[176:179], a[76:77], v[124:125], v[176:179]// 00000002AB54: D3F300B0 0EC2F94C
	v_mfma_f32_16x16x32_fp8_fp8 v[176:179], a[78:79], v[126:127], v[176:179]// 00000002AB5C: D3F300B0 0EC2FD4E
	v_mfma_f32_16x16x32_fp8_fp8 v[180:183], a[80:81], v[112:113], 0// 00000002AB64: D3F300B4 0A02E150
	v_mfma_f32_16x16x32_fp8_fp8 v[180:183], a[82:83], v[114:115], v[180:183]// 00000002AB6C: D3F300B4 0ED2E552
	v_mfma_f32_16x16x32_fp8_fp8 v[180:183], a[84:85], v[116:117], v[180:183]// 00000002AB74: D3F300B4 0ED2E954
	v_mfma_f32_16x16x32_fp8_fp8 v[180:183], a[86:87], v[118:119], v[180:183]// 00000002AB7C: D3F300B4 0ED2ED56
	v_mfma_f32_16x16x32_fp8_fp8 v[180:183], a[88:89], v[120:121], v[180:183]// 00000002AB84: D3F300B4 0ED2F158
	v_mfma_f32_16x16x32_fp8_fp8 v[180:183], a[90:91], v[122:123], v[180:183]// 00000002AB8C: D3F300B4 0ED2F55A
	v_mfma_f32_16x16x32_fp8_fp8 v[180:183], a[92:93], v[124:125], v[180:183]// 00000002AB94: D3F300B4 0ED2F95C
	v_mfma_f32_16x16x32_fp8_fp8 v[180:183], a[94:95], v[126:127], v[180:183]// 00000002AB9C: D3F300B4 0ED2FD5E
	v_mfma_f32_16x16x32_fp8_fp8 v[184:187], a[64:65], v[128:129], 0// 00000002ABA4: D3F300B8 0A030140
	v_mfma_f32_16x16x32_fp8_fp8 v[184:187], a[66:67], v[130:131], v[184:187]// 00000002ABAC: D3F300B8 0EE30542
	v_mfma_f32_16x16x32_fp8_fp8 v[184:187], a[68:69], v[132:133], v[184:187]// 00000002ABB4: D3F300B8 0EE30944
	v_mfma_f32_16x16x32_fp8_fp8 v[184:187], a[70:71], v[134:135], v[184:187]// 00000002ABBC: D3F300B8 0EE30D46
	v_mfma_f32_16x16x32_fp8_fp8 v[184:187], a[72:73], v[136:137], v[184:187]// 00000002ABC4: D3F300B8 0EE31148
	v_mfma_f32_16x16x32_fp8_fp8 v[184:187], a[74:75], v[138:139], v[184:187]// 00000002ABCC: D3F300B8 0EE3154A
	v_mfma_f32_16x16x32_fp8_fp8 v[184:187], a[76:77], v[140:141], v[184:187]// 00000002ABD4: D3F300B8 0EE3194C
	v_mfma_f32_16x16x32_fp8_fp8 v[184:187], a[78:79], v[142:143], v[184:187]// 00000002ABDC: D3F300B8 0EE31D4E
	v_mfma_f32_16x16x32_fp8_fp8 v[188:191], a[80:81], v[128:129], 0// 00000002ABE4: D3F300BC 0A030150
	v_mfma_f32_16x16x32_fp8_fp8 v[188:191], a[82:83], v[130:131], v[188:191]// 00000002ABEC: D3F300BC 0EF30552
	v_mfma_f32_16x16x32_fp8_fp8 v[188:191], a[84:85], v[132:133], v[188:191]// 00000002ABF4: D3F300BC 0EF30954
	v_mfma_f32_16x16x32_fp8_fp8 v[188:191], a[86:87], v[134:135], v[188:191]// 00000002ABFC: D3F300BC 0EF30D56
	v_mfma_f32_16x16x32_fp8_fp8 v[188:191], a[88:89], v[136:137], v[188:191]// 00000002AC04: D3F300BC 0EF31158
	v_mfma_f32_16x16x32_fp8_fp8 v[188:191], a[90:91], v[138:139], v[188:191]// 00000002AC0C: D3F300BC 0EF3155A
	v_mfma_f32_16x16x32_fp8_fp8 v[188:191], a[92:93], v[140:141], v[188:191]// 00000002AC14: D3F300BC 0EF3195C
	v_mfma_f32_16x16x32_fp8_fp8 v[188:191], a[94:95], v[142:143], v[188:191]// 00000002AC1C: D3F300BC 0EF31D5E
	v_mfma_f32_16x16x32_fp8_fp8 v[192:195], a[64:65], v[144:145], 0// 00000002AC24: D3F300C0 0A032140
	v_mfma_f32_16x16x32_fp8_fp8 v[192:195], a[66:67], v[146:147], v[192:195]// 00000002AC2C: D3F300C0 0F032542
	v_mfma_f32_16x16x32_fp8_fp8 v[192:195], a[68:69], v[148:149], v[192:195]// 00000002AC34: D3F300C0 0F032944
	v_mfma_f32_16x16x32_fp8_fp8 v[192:195], a[70:71], v[150:151], v[192:195]// 00000002AC3C: D3F300C0 0F032D46
	v_mfma_f32_16x16x32_fp8_fp8 v[192:195], a[72:73], v[152:153], v[192:195]// 00000002AC44: D3F300C0 0F033148
	v_mfma_f32_16x16x32_fp8_fp8 v[192:195], a[74:75], v[154:155], v[192:195]// 00000002AC4C: D3F300C0 0F03354A
	v_mfma_f32_16x16x32_fp8_fp8 v[192:195], a[76:77], v[156:157], v[192:195]// 00000002AC54: D3F300C0 0F03394C
	v_mfma_f32_16x16x32_fp8_fp8 v[192:195], a[78:79], v[158:159], v[192:195]// 00000002AC5C: D3F300C0 0F033D4E
	v_mfma_f32_16x16x32_fp8_fp8 v[196:199], a[80:81], v[144:145], 0// 00000002AC64: D3F300C4 0A032150
	v_mfma_f32_16x16x32_fp8_fp8 v[196:199], a[82:83], v[146:147], v[196:199]// 00000002AC6C: D3F300C4 0F132552
	v_mfma_f32_16x16x32_fp8_fp8 v[196:199], a[84:85], v[148:149], v[196:199]// 00000002AC74: D3F300C4 0F132954
	v_mfma_f32_16x16x32_fp8_fp8 v[196:199], a[86:87], v[150:151], v[196:199]// 00000002AC7C: D3F300C4 0F132D56
	v_mfma_f32_16x16x32_fp8_fp8 v[196:199], a[88:89], v[152:153], v[196:199]// 00000002AC84: D3F300C4 0F133158
	v_mfma_f32_16x16x32_fp8_fp8 v[196:199], a[90:91], v[154:155], v[196:199]// 00000002AC8C: D3F300C4 0F13355A
	v_mfma_f32_16x16x32_fp8_fp8 v[196:199], a[92:93], v[156:157], v[196:199]// 00000002AC94: D3F300C4 0F13395C
	v_mfma_f32_16x16x32_fp8_fp8 v[196:199], a[94:95], v[158:159], v[196:199]// 00000002AC9C: D3F300C4 0F133D5E
	v_mfma_f32_16x16x32_fp8_fp8 v[200:203], a[64:65], v[160:161], 0// 00000002ACA4: D3F300C8 0A034140
	v_mfma_f32_16x16x32_fp8_fp8 v[200:203], a[66:67], v[162:163], v[200:203]// 00000002ACAC: D3F300C8 0F234542
	v_mfma_f32_16x16x32_fp8_fp8 v[200:203], a[68:69], v[164:165], v[200:203]// 00000002ACB4: D3F300C8 0F234944
	v_mfma_f32_16x16x32_fp8_fp8 v[200:203], a[70:71], v[166:167], v[200:203]// 00000002ACBC: D3F300C8 0F234D46
	v_mfma_f32_16x16x32_fp8_fp8 v[200:203], a[72:73], v[168:169], v[200:203]// 00000002ACC4: D3F300C8 0F235148
	v_mfma_f32_16x16x32_fp8_fp8 v[200:203], a[74:75], v[170:171], v[200:203]// 00000002ACCC: D3F300C8 0F23554A
	v_mfma_f32_16x16x32_fp8_fp8 v[200:203], a[76:77], v[172:173], v[200:203]// 00000002ACD4: D3F300C8 0F23594C
	v_mfma_f32_16x16x32_fp8_fp8 v[200:203], a[78:79], v[174:175], v[200:203]// 00000002ACDC: D3F300C8 0F235D4E
	v_mfma_f32_16x16x32_fp8_fp8 v[204:207], a[80:81], v[160:161], 0// 00000002ACE4: D3F300CC 0A034150
	v_mfma_f32_16x16x32_fp8_fp8 v[204:207], a[82:83], v[162:163], v[204:207]// 00000002ACEC: D3F300CC 0F334552
	v_mfma_f32_16x16x32_fp8_fp8 v[204:207], a[84:85], v[164:165], v[204:207]// 00000002ACF4: D3F300CC 0F334954
	v_mfma_f32_16x16x32_fp8_fp8 v[204:207], a[86:87], v[166:167], v[204:207]// 00000002ACFC: D3F300CC 0F334D56
	v_mfma_f32_16x16x32_fp8_fp8 v[204:207], a[88:89], v[168:169], v[204:207]// 00000002AD04: D3F300CC 0F335158
	v_mfma_f32_16x16x32_fp8_fp8 v[204:207], a[90:91], v[170:171], v[204:207]// 00000002AD0C: D3F300CC 0F33555A
	v_mfma_f32_16x16x32_fp8_fp8 v[204:207], a[92:93], v[172:173], v[204:207]// 00000002AD14: D3F300CC 0F33595C
	v_mfma_f32_16x16x32_fp8_fp8 v[204:207], a[94:95], v[174:175], v[204:207]// 00000002AD1C: D3F300CC 0F335D5E
	s_nop 4                                                    // 00000002AD24: BF800004
	s_branch label_AE3A                                        // 00000002AD28: BF820B6F

000000000002ad2c <label_A2CB>:
	s_waitcnt vmcnt(8) lgkmcnt(0)                              // 00000002AD2C: BF8C0078
	s_barrier                                                  // 00000002AD30: BF8A0000
	v_mfma_f32_16x16x32_fp8_fp8 v[112:115], a[32:33], v[80:81], 0// 00000002AD34: D3F30070 0A02A120
	v_mfma_f32_16x16x32_fp8_fp8 v[112:115], a[34:35], v[82:83], v[112:115]// 00000002AD3C: D3F30070 0DC2A522
	v_mfma_f32_16x16x32_fp8_fp8 v[112:115], a[36:37], v[84:85], v[112:115]// 00000002AD44: D3F30070 0DC2A924
	v_mfma_f32_16x16x32_fp8_fp8 v[112:115], a[38:39], v[86:87], v[112:115]// 00000002AD4C: D3F30070 0DC2AD26
	v_mfma_f32_16x16x32_fp8_fp8 v[116:119], a[40:41], v[80:81], 0// 00000002AD54: D3F30074 0A02A128
	v_mfma_f32_16x16x32_fp8_fp8 v[116:119], a[42:43], v[82:83], v[116:119]// 00000002AD5C: D3F30074 0DD2A52A
	v_mfma_f32_16x16x32_fp8_fp8 v[116:119], a[44:45], v[84:85], v[116:119]// 00000002AD64: D3F30074 0DD2A92C
	v_mfma_f32_16x16x32_fp8_fp8 v[116:119], a[46:47], v[86:87], v[116:119]// 00000002AD6C: D3F30074 0DD2AD2E
	v_mfma_f32_16x16x32_fp8_fp8 v[120:123], a[48:49], v[80:81], 0// 00000002AD74: D3F30078 0A02A130
	v_mfma_f32_16x16x32_fp8_fp8 v[120:123], a[50:51], v[82:83], v[120:123]// 00000002AD7C: D3F30078 0DE2A532
	v_mfma_f32_16x16x32_fp8_fp8 v[120:123], a[52:53], v[84:85], v[120:123]// 00000002AD84: D3F30078 0DE2A934
	v_mfma_f32_16x16x32_fp8_fp8 v[120:123], a[54:55], v[86:87], v[120:123]// 00000002AD8C: D3F30078 0DE2AD36
	v_mfma_f32_16x16x32_fp8_fp8 v[124:127], a[56:57], v[80:81], 0// 00000002AD94: D3F3007C 0A02A138
	v_mfma_f32_16x16x32_fp8_fp8 v[124:127], a[58:59], v[82:83], v[124:127]// 00000002AD9C: D3F3007C 0DF2A53A
	v_mfma_f32_16x16x32_fp8_fp8 v[124:127], a[60:61], v[84:85], v[124:127]// 00000002ADA4: D3F3007C 0DF2A93C
	v_mfma_f32_16x16x32_fp8_fp8 v[124:127], a[62:63], v[86:87], v[124:127]// 00000002ADAC: D3F3007C 0DF2AD3E
	v_mfma_f32_16x16x32_fp8_fp8 v[128:131], a[32:33], v[88:89], 0// 00000002ADB4: D3F30080 0A02B120
	v_mfma_f32_16x16x32_fp8_fp8 v[128:131], a[34:35], v[90:91], v[128:131]// 00000002ADBC: D3F30080 0E02B522
	v_mfma_f32_16x16x32_fp8_fp8 v[128:131], a[36:37], v[92:93], v[128:131]// 00000002ADC4: D3F30080 0E02B924
	v_mfma_f32_16x16x32_fp8_fp8 v[128:131], a[38:39], v[94:95], v[128:131]// 00000002ADCC: D3F30080 0E02BD26
	v_mfma_f32_16x16x32_fp8_fp8 v[132:135], a[40:41], v[88:89], 0// 00000002ADD4: D3F30084 0A02B128
	v_mfma_f32_16x16x32_fp8_fp8 v[132:135], a[42:43], v[90:91], v[132:135]// 00000002ADDC: D3F30084 0E12B52A
	v_mfma_f32_16x16x32_fp8_fp8 v[132:135], a[44:45], v[92:93], v[132:135]// 00000002ADE4: D3F30084 0E12B92C
	v_mfma_f32_16x16x32_fp8_fp8 v[132:135], a[46:47], v[94:95], v[132:135]// 00000002ADEC: D3F30084 0E12BD2E
	v_mfma_f32_16x16x32_fp8_fp8 v[136:139], a[48:49], v[88:89], 0// 00000002ADF4: D3F30088 0A02B130
	v_mfma_f32_16x16x32_fp8_fp8 v[136:139], a[50:51], v[90:91], v[136:139]// 00000002ADFC: D3F30088 0E22B532
	v_mfma_f32_16x16x32_fp8_fp8 v[136:139], a[52:53], v[92:93], v[136:139]// 00000002AE04: D3F30088 0E22B934
	v_mfma_f32_16x16x32_fp8_fp8 v[136:139], a[54:55], v[94:95], v[136:139]// 00000002AE0C: D3F30088 0E22BD36
	v_mfma_f32_16x16x32_fp8_fp8 v[140:143], a[56:57], v[88:89], 0// 00000002AE14: D3F3008C 0A02B138
	v_mfma_f32_16x16x32_fp8_fp8 v[140:143], a[58:59], v[90:91], v[140:143]// 00000002AE1C: D3F3008C 0E32B53A
	v_mfma_f32_16x16x32_fp8_fp8 v[140:143], a[60:61], v[92:93], v[140:143]// 00000002AE24: D3F3008C 0E32B93C
	v_mfma_f32_16x16x32_fp8_fp8 v[140:143], a[62:63], v[94:95], v[140:143]// 00000002AE2C: D3F3008C 0E32BD3E
	v_mfma_f32_16x16x32_fp8_fp8 v[144:147], a[32:33], v[96:97], 0// 00000002AE34: D3F30090 0A02C120
	v_mfma_f32_16x16x32_fp8_fp8 v[144:147], a[34:35], v[98:99], v[144:147]// 00000002AE3C: D3F30090 0E42C522
	v_mfma_f32_16x16x32_fp8_fp8 v[144:147], a[36:37], v[100:101], v[144:147]// 00000002AE44: D3F30090 0E42C924
	v_mfma_f32_16x16x32_fp8_fp8 v[144:147], a[38:39], v[102:103], v[144:147]// 00000002AE4C: D3F30090 0E42CD26
	v_mfma_f32_16x16x32_fp8_fp8 v[148:151], a[40:41], v[96:97], 0// 00000002AE54: D3F30094 0A02C128
	v_mfma_f32_16x16x32_fp8_fp8 v[148:151], a[42:43], v[98:99], v[148:151]// 00000002AE5C: D3F30094 0E52C52A
	v_mfma_f32_16x16x32_fp8_fp8 v[148:151], a[44:45], v[100:101], v[148:151]// 00000002AE64: D3F30094 0E52C92C
	v_mfma_f32_16x16x32_fp8_fp8 v[148:151], a[46:47], v[102:103], v[148:151]// 00000002AE6C: D3F30094 0E52CD2E
	v_mfma_f32_16x16x32_fp8_fp8 v[152:155], a[48:49], v[96:97], 0// 00000002AE74: D3F30098 0A02C130
	v_mfma_f32_16x16x32_fp8_fp8 v[152:155], a[50:51], v[98:99], v[152:155]// 00000002AE7C: D3F30098 0E62C532
	v_mfma_f32_16x16x32_fp8_fp8 v[152:155], a[52:53], v[100:101], v[152:155]// 00000002AE84: D3F30098 0E62C934
	v_mfma_f32_16x16x32_fp8_fp8 v[152:155], a[54:55], v[102:103], v[152:155]// 00000002AE8C: D3F30098 0E62CD36
	v_mfma_f32_16x16x32_fp8_fp8 v[156:159], a[56:57], v[96:97], 0// 00000002AE94: D3F3009C 0A02C138
	v_mfma_f32_16x16x32_fp8_fp8 v[156:159], a[58:59], v[98:99], v[156:159]// 00000002AE9C: D3F3009C 0E72C53A
	v_mfma_f32_16x16x32_fp8_fp8 v[156:159], a[60:61], v[100:101], v[156:159]// 00000002AEA4: D3F3009C 0E72C93C
	v_mfma_f32_16x16x32_fp8_fp8 v[156:159], a[62:63], v[102:103], v[156:159]// 00000002AEAC: D3F3009C 0E72CD3E
	v_mfma_f32_16x16x32_fp8_fp8 v[160:163], a[32:33], v[104:105], 0// 00000002AEB4: D3F300A0 0A02D120
	v_mfma_f32_16x16x32_fp8_fp8 v[160:163], a[34:35], v[106:107], v[160:163]// 00000002AEBC: D3F300A0 0E82D522
	v_mfma_f32_16x16x32_fp8_fp8 v[160:163], a[36:37], v[108:109], v[160:163]// 00000002AEC4: D3F300A0 0E82D924
	v_mfma_f32_16x16x32_fp8_fp8 v[160:163], a[38:39], v[110:111], v[160:163]// 00000002AECC: D3F300A0 0E82DD26
	v_mfma_f32_16x16x32_fp8_fp8 v[164:167], a[40:41], v[104:105], 0// 00000002AED4: D3F300A4 0A02D128
	v_mfma_f32_16x16x32_fp8_fp8 v[164:167], a[42:43], v[106:107], v[164:167]// 00000002AEDC: D3F300A4 0E92D52A
	v_mfma_f32_16x16x32_fp8_fp8 v[164:167], a[44:45], v[108:109], v[164:167]// 00000002AEE4: D3F300A4 0E92D92C
	v_mfma_f32_16x16x32_fp8_fp8 v[164:167], a[46:47], v[110:111], v[164:167]// 00000002AEEC: D3F300A4 0E92DD2E
	v_mfma_f32_16x16x32_fp8_fp8 v[168:171], a[48:49], v[104:105], 0// 00000002AEF4: D3F300A8 0A02D130
	v_mfma_f32_16x16x32_fp8_fp8 v[168:171], a[50:51], v[106:107], v[168:171]// 00000002AEFC: D3F300A8 0EA2D532
	v_mfma_f32_16x16x32_fp8_fp8 v[168:171], a[52:53], v[108:109], v[168:171]// 00000002AF04: D3F300A8 0EA2D934
	v_mfma_f32_16x16x32_fp8_fp8 v[168:171], a[54:55], v[110:111], v[168:171]// 00000002AF0C: D3F300A8 0EA2DD36
	v_mfma_f32_16x16x32_fp8_fp8 v[172:175], a[56:57], v[104:105], 0// 00000002AF14: D3F300AC 0A02D138
	v_mfma_f32_16x16x32_fp8_fp8 v[172:175], a[58:59], v[106:107], v[172:175]// 00000002AF1C: D3F300AC 0EB2D53A
	v_mfma_f32_16x16x32_fp8_fp8 v[172:175], a[60:61], v[108:109], v[172:175]// 00000002AF24: D3F300AC 0EB2D93C
	v_mfma_f32_16x16x32_fp8_fp8 v[172:175], a[62:63], v[110:111], v[172:175]// 00000002AF2C: D3F300AC 0EB2DD3E
	v_mov_b32_dpp v64, v43 row_shr:4 row_mask:0xf bank_mask:0xf// 00000002AF34: 7E8002FA FF01142B
	v_mov_b32_dpp v65, v43 row_shl:4 row_mask:0xf bank_mask:0xf// 00000002AF3C: 7E8202FA FF01042B
	v_cndmask_b32_e64 v248, v43, v64, s[44:45]                 // 00000002AF44: D10000F8 00B2812B
	v_cndmask_b32_e64 v249, v65, v43, s[44:45]                 // 00000002AF4C: D10000F9 00B25741
	v_mov_b32_dpp v64, v248 row_shr:8 row_mask:0xf bank_mask:0xf// 00000002AF54: 7E8002FA FF0118F8
	v_mov_b32_dpp v65, v248 row_shl:8 row_mask:0xf bank_mask:0xf// 00000002AF5C: 7E8202FA FF0108F8
	v_mov_b32_dpp v66, v249 row_shr:8 row_mask:0xf bank_mask:0xf// 00000002AF64: 7E8402FA FF0118F9
	v_mov_b32_dpp v67, v249 row_shl:8 row_mask:0xf bank_mask:0xf// 00000002AF6C: 7E8602FA FF0108F9
	v_mov_b32_e32 v68, v248                                    // 00000002AF74: 7E8803F8
	v_mov_b32_e32 v69, v249                                    // 00000002AF78: 7E8A03F9
	v_cndmask_b32_e64 v248, v68, v64, s[42:43]                 // 00000002AF7C: D10000F8 00AA8144
	v_cndmask_b32_e64 v250, v68, v65, s[78:79]                 // 00000002AF84: D10000FA 013A8344
	v_cndmask_b32_e64 v249, v69, v66, s[42:43]                 // 00000002AF8C: D10000F9 00AA8545
	v_cndmask_b32_e64 v251, v69, v67, s[78:79]                 // 00000002AF94: D10000FB 013A8745
	v_mov_b32_dpp v64, v58 row_shr:4 row_mask:0xf bank_mask:0xf// 00000002AF9C: 7E8002FA FF01143A
	v_mov_b32_dpp v65, v58 row_shl:4 row_mask:0xf bank_mask:0xf// 00000002AFA4: 7E8202FA FF01043A
	v_cndmask_b32_e64 v252, v58, v64, s[44:45]                 // 00000002AFAC: D10000FC 00B2813A
	v_cndmask_b32_e64 v253, v65, v58, s[44:45]                 // 00000002AFB4: D10000FD 00B27541
	v_mov_b32_dpp v64, v252 row_shr:8 row_mask:0xf bank_mask:0xf// 00000002AFBC: 7E8002FA FF0118FC
	v_mov_b32_dpp v65, v252 row_shl:8 row_mask:0xf bank_mask:0xf// 00000002AFC4: 7E8202FA FF0108FC
	v_mov_b32_dpp v66, v253 row_shr:8 row_mask:0xf bank_mask:0xf// 00000002AFCC: 7E8402FA FF0118FD
	v_mov_b32_dpp v67, v253 row_shl:8 row_mask:0xf bank_mask:0xf// 00000002AFD4: 7E8602FA FF0108FD
	v_mov_b32_e32 v68, v252                                    // 00000002AFDC: 7E8803FC
	v_mov_b32_e32 v69, v253                                    // 00000002AFE0: 7E8A03FD
	v_cndmask_b32_e64 v252, v68, v64, s[42:43]                 // 00000002AFE4: D10000FC 00AA8144
	v_cndmask_b32_e64 v254, v68, v65, s[78:79]                 // 00000002AFEC: D10000FE 013A8344
	v_cndmask_b32_e64 v253, v69, v66, s[42:43]                 // 00000002AFF4: D10000FD 00AA8545
	v_cndmask_b32_e64 v255, v69, v67, s[78:79]                 // 00000002AFFC: D10000FF 013A8745
	v_mul_f32_e32 v112, v18, v112                              // 00000002B004: 0AE0E112
	v_mul_f32_e32 v113, v18, v113                              // 00000002B008: 0AE2E312
	v_mul_f32_e32 v114, v18, v114                              // 00000002B00C: 0AE4E512
	v_mul_f32_e32 v115, v18, v115                              // 00000002B010: 0AE6E712
	v_mul_f32_e32 v116, v18, v116                              // 00000002B014: 0AE8E912
	v_mul_f32_e32 v117, v18, v117                              // 00000002B018: 0AEAEB12
	v_mul_f32_e32 v118, v18, v118                              // 00000002B01C: 0AECED12
	v_mul_f32_e32 v119, v18, v119                              // 00000002B020: 0AEEEF12
	v_mul_f32_e32 v120, v18, v120                              // 00000002B024: 0AF0F112
	v_mul_f32_e32 v121, v18, v121                              // 00000002B028: 0AF2F312
	v_mul_f32_e32 v122, v18, v122                              // 00000002B02C: 0AF4F512
	v_mul_f32_e32 v123, v18, v123                              // 00000002B030: 0AF6F712
	v_mul_f32_e32 v124, v18, v124                              // 00000002B034: 0AF8F912
	v_mul_f32_e32 v125, v18, v125                              // 00000002B038: 0AFAFB12
	v_mul_f32_e32 v126, v18, v126                              // 00000002B03C: 0AFCFD12
	v_mul_f32_e32 v127, v18, v127                              // 00000002B040: 0AFEFF12
	v_mul_f32_dpp v112, v248, v112 quad_perm:[0,0,0,0] row_mask:0xf bank_mask:0xf// 00000002B044: 0AE0E0FA FF0000F8
	v_mul_f32_dpp v113, v248, v113 quad_perm:[1,1,1,1] row_mask:0xf bank_mask:0xf// 00000002B04C: 0AE2E2FA FF0055F8
	v_mul_f32_dpp v114, v248, v114 quad_perm:[2,2,2,2] row_mask:0xf bank_mask:0xf// 00000002B054: 0AE4E4FA FF00AAF8
	v_mul_f32_dpp v115, v248, v115 quad_perm:[3,3,3,3] row_mask:0xf bank_mask:0xf// 00000002B05C: 0AE6E6FA FF00FFF8
	v_mul_f32_dpp v116, v249, v116 quad_perm:[0,0,0,0] row_mask:0xf bank_mask:0xf// 00000002B064: 0AE8E8FA FF0000F9
	v_mul_f32_dpp v117, v249, v117 quad_perm:[1,1,1,1] row_mask:0xf bank_mask:0xf// 00000002B06C: 0AEAEAFA FF0055F9
	v_mul_f32_dpp v118, v249, v118 quad_perm:[2,2,2,2] row_mask:0xf bank_mask:0xf// 00000002B074: 0AECECFA FF00AAF9
	v_mul_f32_dpp v119, v249, v119 quad_perm:[3,3,3,3] row_mask:0xf bank_mask:0xf// 00000002B07C: 0AEEEEFA FF00FFF9
	v_mul_f32_dpp v120, v250, v120 quad_perm:[0,0,0,0] row_mask:0xf bank_mask:0xf// 00000002B084: 0AF0F0FA FF0000FA
	v_mul_f32_dpp v121, v250, v121 quad_perm:[1,1,1,1] row_mask:0xf bank_mask:0xf// 00000002B08C: 0AF2F2FA FF0055FA
	v_mul_f32_dpp v122, v250, v122 quad_perm:[2,2,2,2] row_mask:0xf bank_mask:0xf// 00000002B094: 0AF4F4FA FF00AAFA
	v_mul_f32_dpp v123, v250, v123 quad_perm:[3,3,3,3] row_mask:0xf bank_mask:0xf// 00000002B09C: 0AF6F6FA FF00FFFA
	v_mul_f32_dpp v124, v251, v124 quad_perm:[0,0,0,0] row_mask:0xf bank_mask:0xf// 00000002B0A4: 0AF8F8FA FF0000FB
	v_mul_f32_dpp v125, v251, v125 quad_perm:[1,1,1,1] row_mask:0xf bank_mask:0xf// 00000002B0AC: 0AFAFAFA FF0055FB
	v_mul_f32_dpp v126, v251, v126 quad_perm:[2,2,2,2] row_mask:0xf bank_mask:0xf// 00000002B0B4: 0AFCFCFA FF00AAFB
	v_mul_f32_dpp v127, v251, v127 quad_perm:[3,3,3,3] row_mask:0xf bank_mask:0xf// 00000002B0BC: 0AFEFEFA FF00FFFB
	s_cmp_le_i32 s90, s89                                      // 00000002B0C4: BF05595A
	s_cbranch_scc1 label_A424                                  // 00000002B0C8: BF850071
	v_mov_b32_e32 v66, 0xff800000                              // 00000002B0CC: 7E8402FF FF800000
	s_mov_b32 s60, s90                                         // 00000002B0D4: BEBC005A
	s_add_u32 s61, s89, 0xff                                   // 00000002B0D8: 803DFF59 000000FF
	v_mov_b32_e32 v64, s61                                     // 00000002B0E0: 7E80023D
	v_lshrrev_b32_e32 v240, 4, v0                              // 00000002B0E4: 21E00084
	v_mul_i32_i24_e32 v240, 4, v240                            // 00000002B0E8: 0DE1E084
	v_add_u32_e32 v240, s60, v240                              // 00000002B0EC: 69E1E03C
	s_mov_b32 s61, 0                                           // 00000002B0F0: BEBD0080
	s_mul_i32 s60, 16, s7                                      // 00000002B0F4: 923C0790
	v_sub_u32_e64 v240, v240, s61                              // 00000002B0F8: D13500F0 00007BF0
	v_add_u32_e32 v240, s60, v240                              // 00000002B100: 69E1E03C
	v_add_u32_e32 v241, 1, v240                                // 00000002B104: 69E3E081
	v_add_u32_e32 v242, 2, v240                                // 00000002B108: 69E5E082
	v_add_u32_e32 v243, 3, v240                                // 00000002B10C: 69E7E083
	v_cmp_le_u32_e64 s[40:41], v240, v64                       // 00000002B110: D0CB0028 000281F0
	v_add_u32_e32 v240, 64, v240                               // 00000002B118: 69E1E0C0
	s_nop 0                                                    // 00000002B11C: BF800000
	v_cndmask_b32_e64 v112, v66, v112, s[40:41]                // 00000002B120: D1000070 00A2E142
	v_cmp_le_u32_e64 s[40:41], v241, v64                       // 00000002B128: D0CB0028 000281F1
	v_add_u32_e32 v241, 64, v241                               // 00000002B130: 69E3E2C0
	s_nop 0                                                    // 00000002B134: BF800000
	v_cndmask_b32_e64 v113, v66, v113, s[40:41]                // 00000002B138: D1000071 00A2E342
	v_cmp_le_u32_e64 s[40:41], v242, v64                       // 00000002B140: D0CB0028 000281F2
	v_add_u32_e32 v242, 64, v242                               // 00000002B148: 69E5E4C0
	s_nop 0                                                    // 00000002B14C: BF800000
	v_cndmask_b32_e64 v114, v66, v114, s[40:41]                // 00000002B150: D1000072 00A2E542
	v_cmp_le_u32_e64 s[40:41], v243, v64                       // 00000002B158: D0CB0028 000281F3
	v_add_u32_e32 v243, 64, v243                               // 00000002B160: 69E7E6C0
	s_nop 0                                                    // 00000002B164: BF800000
	v_cndmask_b32_e64 v115, v66, v115, s[40:41]                // 00000002B168: D1000073 00A2E742
	v_cmp_le_u32_e64 s[40:41], v240, v64                       // 00000002B170: D0CB0028 000281F0
	v_add_u32_e32 v240, 64, v240                               // 00000002B178: 69E1E0C0
	s_nop 0                                                    // 00000002B17C: BF800000
	v_cndmask_b32_e64 v116, v66, v116, s[40:41]                // 00000002B180: D1000074 00A2E942
	v_cmp_le_u32_e64 s[40:41], v241, v64                       // 00000002B188: D0CB0028 000281F1
	v_add_u32_e32 v241, 64, v241                               // 00000002B190: 69E3E2C0
	s_nop 0                                                    // 00000002B194: BF800000
	v_cndmask_b32_e64 v117, v66, v117, s[40:41]                // 00000002B198: D1000075 00A2EB42
	v_cmp_le_u32_e64 s[40:41], v242, v64                       // 00000002B1A0: D0CB0028 000281F2
	v_add_u32_e32 v242, 64, v242                               // 00000002B1A8: 69E5E4C0
	s_nop 0                                                    // 00000002B1AC: BF800000
	v_cndmask_b32_e64 v118, v66, v118, s[40:41]                // 00000002B1B0: D1000076 00A2ED42
	v_cmp_le_u32_e64 s[40:41], v243, v64                       // 00000002B1B8: D0CB0028 000281F3
	v_add_u32_e32 v243, 64, v243                               // 00000002B1C0: 69E7E6C0
	s_nop 0                                                    // 00000002B1C4: BF800000
	v_cndmask_b32_e64 v119, v66, v119, s[40:41]                // 00000002B1C8: D1000077 00A2EF42
	v_cmp_le_u32_e64 s[40:41], v240, v64                       // 00000002B1D0: D0CB0028 000281F0
	v_add_u32_e32 v240, 64, v240                               // 00000002B1D8: 69E1E0C0
	s_nop 0                                                    // 00000002B1DC: BF800000
	v_cndmask_b32_e64 v120, v66, v120, s[40:41]                // 00000002B1E0: D1000078 00A2F142
	v_cmp_le_u32_e64 s[40:41], v241, v64                       // 00000002B1E8: D0CB0028 000281F1
	v_add_u32_e32 v241, 64, v241                               // 00000002B1F0: 69E3E2C0
	s_nop 0                                                    // 00000002B1F4: BF800000
	v_cndmask_b32_e64 v121, v66, v121, s[40:41]                // 00000002B1F8: D1000079 00A2F342
	v_cmp_le_u32_e64 s[40:41], v242, v64                       // 00000002B200: D0CB0028 000281F2
	v_add_u32_e32 v242, 64, v242                               // 00000002B208: 69E5E4C0
	s_nop 0                                                    // 00000002B20C: BF800000
	v_cndmask_b32_e64 v122, v66, v122, s[40:41]                // 00000002B210: D100007A 00A2F542
	v_cmp_le_u32_e64 s[40:41], v243, v64                       // 00000002B218: D0CB0028 000281F3
	v_add_u32_e32 v243, 64, v243                               // 00000002B220: 69E7E6C0
	s_nop 0                                                    // 00000002B224: BF800000
	v_cndmask_b32_e64 v123, v66, v123, s[40:41]                // 00000002B228: D100007B 00A2F742
	v_cmp_le_u32_e64 s[40:41], v240, v64                       // 00000002B230: D0CB0028 000281F0
	v_add_u32_e32 v240, 64, v240                               // 00000002B238: 69E1E0C0
	s_nop 0                                                    // 00000002B23C: BF800000
	v_cndmask_b32_e64 v124, v66, v124, s[40:41]                // 00000002B240: D100007C 00A2F942
	v_cmp_le_u32_e64 s[40:41], v241, v64                       // 00000002B248: D0CB0028 000281F1
	v_add_u32_e32 v241, 64, v241                               // 00000002B250: 69E3E2C0
	s_nop 0                                                    // 00000002B254: BF800000
	v_cndmask_b32_e64 v125, v66, v125, s[40:41]                // 00000002B258: D100007D 00A2FB42
	v_cmp_le_u32_e64 s[40:41], v242, v64                       // 00000002B260: D0CB0028 000281F2
	v_add_u32_e32 v242, 64, v242                               // 00000002B268: 69E5E4C0
	s_nop 0                                                    // 00000002B26C: BF800000
	v_cndmask_b32_e64 v126, v66, v126, s[40:41]                // 00000002B270: D100007E 00A2FD42
	v_cmp_le_u32_e64 s[40:41], v243, v64                       // 00000002B278: D0CB0028 000281F3
	v_add_u32_e32 v243, 64, v243                               // 00000002B280: 69E7E6C0
	s_nop 0                                                    // 00000002B284: BF800000
	v_cndmask_b32_e64 v127, v66, v127, s[40:41]                // 00000002B288: D100007F 00A2FF42

000000000002b290 <label_A424>:
	s_and_b32 s60, s72, 0xff                                   // 00000002B290: 863CFF48 000000FF
	v_mov_b32_e32 v65, s60                                     // 00000002B298: 7E82023C
	v_lshrrev_b32_e32 v240, 4, v0                              // 00000002B29C: 21E00084
	v_mul_i32_i24_e32 v240, 4, v240                            // 00000002B2A0: 0DE1E084
	s_mul_i32 s60, s7, 16                                      // 00000002B2A4: 923C9007
	v_add_u32_e32 v240, s60, v240                              // 00000002B2A8: 69E1E03C
	v_add_u32_e32 v241, 1, v240                                // 00000002B2AC: 69E3E081
	v_add_u32_e32 v242, 2, v240                                // 00000002B2B0: 69E5E082
	v_add_u32_e32 v243, 3, v240                                // 00000002B2B4: 69E7E083
	v_mov_b32_e32 v64, 0xff800000                              // 00000002B2B8: 7E8002FF FF800000
	v_cmp_lt_u32_e64 s[40:41], v240, v65                       // 00000002B2C0: D0C90028 000283F0
	v_add_u32_e32 v240, 64, v240                               // 00000002B2C8: 69E1E0C0
	s_nop 0                                                    // 00000002B2CC: BF800000
	v_cndmask_b32_e64 v112, v64, v112, s[40:41]                // 00000002B2D0: D1000070 00A2E140
	v_cmp_lt_u32_e64 s[40:41], v241, v65                       // 00000002B2D8: D0C90028 000283F1
	v_add_u32_e32 v241, 64, v241                               // 00000002B2E0: 69E3E2C0
	s_nop 0                                                    // 00000002B2E4: BF800000
	v_cndmask_b32_e64 v113, v64, v113, s[40:41]                // 00000002B2E8: D1000071 00A2E340
	v_cmp_lt_u32_e64 s[40:41], v242, v65                       // 00000002B2F0: D0C90028 000283F2
	v_add_u32_e32 v242, 64, v242                               // 00000002B2F8: 69E5E4C0
	s_nop 0                                                    // 00000002B2FC: BF800000
	v_cndmask_b32_e64 v114, v64, v114, s[40:41]                // 00000002B300: D1000072 00A2E540
	v_cmp_lt_u32_e64 s[40:41], v243, v65                       // 00000002B308: D0C90028 000283F3
	v_add_u32_e32 v243, 64, v243                               // 00000002B310: 69E7E6C0
	s_nop 0                                                    // 00000002B314: BF800000
	v_cndmask_b32_e64 v115, v64, v115, s[40:41]                // 00000002B318: D1000073 00A2E740
	v_cmp_lt_u32_e64 s[40:41], v240, v65                       // 00000002B320: D0C90028 000283F0
	v_add_u32_e32 v240, 64, v240                               // 00000002B328: 69E1E0C0
	s_nop 0                                                    // 00000002B32C: BF800000
	v_cndmask_b32_e64 v116, v64, v116, s[40:41]                // 00000002B330: D1000074 00A2E940
	v_cmp_lt_u32_e64 s[40:41], v241, v65                       // 00000002B338: D0C90028 000283F1
	v_add_u32_e32 v241, 64, v241                               // 00000002B340: 69E3E2C0
	s_nop 0                                                    // 00000002B344: BF800000
	v_cndmask_b32_e64 v117, v64, v117, s[40:41]                // 00000002B348: D1000075 00A2EB40
	v_cmp_lt_u32_e64 s[40:41], v242, v65                       // 00000002B350: D0C90028 000283F2
	v_add_u32_e32 v242, 64, v242                               // 00000002B358: 69E5E4C0
	s_nop 0                                                    // 00000002B35C: BF800000
	v_cndmask_b32_e64 v118, v64, v118, s[40:41]                // 00000002B360: D1000076 00A2ED40
	v_cmp_lt_u32_e64 s[40:41], v243, v65                       // 00000002B368: D0C90028 000283F3
	v_add_u32_e32 v243, 64, v243                               // 00000002B370: 69E7E6C0
	s_nop 0                                                    // 00000002B374: BF800000
	v_cndmask_b32_e64 v119, v64, v119, s[40:41]                // 00000002B378: D1000077 00A2EF40
	v_cmp_lt_u32_e64 s[40:41], v240, v65                       // 00000002B380: D0C90028 000283F0
	v_add_u32_e32 v240, 64, v240                               // 00000002B388: 69E1E0C0
	s_nop 0                                                    // 00000002B38C: BF800000
	v_cndmask_b32_e64 v120, v64, v120, s[40:41]                // 00000002B390: D1000078 00A2F140
	v_cmp_lt_u32_e64 s[40:41], v241, v65                       // 00000002B398: D0C90028 000283F1
	v_add_u32_e32 v241, 64, v241                               // 00000002B3A0: 69E3E2C0
	s_nop 0                                                    // 00000002B3A4: BF800000
	v_cndmask_b32_e64 v121, v64, v121, s[40:41]                // 00000002B3A8: D1000079 00A2F340
	v_cmp_lt_u32_e64 s[40:41], v242, v65                       // 00000002B3B0: D0C90028 000283F2
	v_add_u32_e32 v242, 64, v242                               // 00000002B3B8: 69E5E4C0
	s_nop 0                                                    // 00000002B3BC: BF800000
	v_cndmask_b32_e64 v122, v64, v122, s[40:41]                // 00000002B3C0: D100007A 00A2F540
	v_cmp_lt_u32_e64 s[40:41], v243, v65                       // 00000002B3C8: D0C90028 000283F3
	v_add_u32_e32 v243, 64, v243                               // 00000002B3D0: 69E7E6C0
	s_nop 0                                                    // 00000002B3D4: BF800000
	v_cndmask_b32_e64 v123, v64, v123, s[40:41]                // 00000002B3D8: D100007B 00A2F740
	v_cmp_lt_u32_e64 s[40:41], v240, v65                       // 00000002B3E0: D0C90028 000283F0
	v_add_u32_e32 v240, 64, v240                               // 00000002B3E8: 69E1E0C0
	s_nop 0                                                    // 00000002B3EC: BF800000
	v_cndmask_b32_e64 v124, v64, v124, s[40:41]                // 00000002B3F0: D100007C 00A2F940
	v_cmp_lt_u32_e64 s[40:41], v241, v65                       // 00000002B3F8: D0C90028 000283F1
	v_add_u32_e32 v241, 64, v241                               // 00000002B400: 69E3E2C0
	s_nop 0                                                    // 00000002B404: BF800000
	v_cndmask_b32_e64 v125, v64, v125, s[40:41]                // 00000002B408: D100007D 00A2FB40
	v_cmp_lt_u32_e64 s[40:41], v242, v65                       // 00000002B410: D0C90028 000283F2
	v_add_u32_e32 v242, 64, v242                               // 00000002B418: 69E5E4C0
	s_nop 0                                                    // 00000002B41C: BF800000
	v_cndmask_b32_e64 v126, v64, v126, s[40:41]                // 00000002B420: D100007E 00A2FD40
	v_cmp_lt_u32_e64 s[40:41], v243, v65                       // 00000002B428: D0C90028 000283F3
	v_add_u32_e32 v243, 64, v243                               // 00000002B430: 69E7E6C0
	s_nop 0                                                    // 00000002B434: BF800000
	v_cndmask_b32_e64 v127, v64, v127, s[40:41]                // 00000002B438: D100007F 00A2FF40
	v_mov_b32_e32 v48, v112                                    // 00000002B440: 7E600370
	v_max3_f32 v48, v112, v113, v48                            // 00000002B444: D1D30030 04C2E370
	v_max3_f32 v48, v114, v115, v48                            // 00000002B44C: D1D30030 04C2E772
	v_max3_f32 v48, v116, v117, v48                            // 00000002B454: D1D30030 04C2EB74
	v_max3_f32 v48, v118, v119, v48                            // 00000002B45C: D1D30030 04C2EF76
	v_max3_f32 v48, v120, v121, v48                            // 00000002B464: D1D30030 04C2F378
	v_max3_f32 v48, v122, v123, v48                            // 00000002B46C: D1D30030 04C2F77A
	v_max3_f32 v48, v124, v125, v48                            // 00000002B474: D1D30030 04C2FB7C
	v_max3_f32 v48, v126, v127, v48                            // 00000002B47C: D1D30030 04C2FF7E
	ds_write_b32 v8, v48 offset:16896                          // 00000002B484: D81A4200 00003008
	v_mul_u32_u24_dpp v64, v16, v54 row_newbcast:1 row_mask:0xf bank_mask:0xf// 00000002B48C: 10806CFA FF015110
	v_mul_u32_u24_dpp v65, v16, v54 row_newbcast:5 row_mask:0xf bank_mask:0xf// 00000002B494: 10826CFA FF015510
	v_mul_u32_u24_dpp v66, v16, v54 row_newbcast:9 row_mask:0xf bank_mask:0xf// 00000002B49C: 10846CFA FF015910
	v_mul_u32_u24_dpp v67, v16, v54 row_newbcast:13 row_mask:0xf bank_mask:0xf// 00000002B4A4: 10866CFA FF015D10
	v_add_u32_e32 v30, v64, v6                                 // 00000002B4AC: 683C0D40
	v_add_u32_e32 v31, v65, v6                                 // 00000002B4B0: 683E0D41
	v_add_u32_e32 v32, v66, v6                                 // 00000002B4B4: 68400D42
	v_add_u32_e32 v33, v67, v6                                 // 00000002B4B8: 68420D43
	v_mul_f32_e32 v208, v49, v208                              // 00000002B4BC: 0BA1A131
	v_mul_f32_e32 v209, v49, v209                              // 00000002B4C0: 0BA3A331
	v_mul_f32_e32 v210, v49, v210                              // 00000002B4C4: 0BA5A531
	v_mul_f32_e32 v211, v49, v211                              // 00000002B4C8: 0BA7A731
	v_mul_f32_e32 v212, v49, v212                              // 00000002B4CC: 0BA9A931
	v_mul_f32_e32 v213, v49, v213                              // 00000002B4D0: 0BABAB31
	v_mul_f32_e32 v214, v49, v214                              // 00000002B4D4: 0BADAD31
	v_mul_f32_e32 v215, v49, v215                              // 00000002B4D8: 0BAFAF31
	s_waitcnt lgkmcnt(0)                                       // 00000002B4DC: BF8CC07F
	s_barrier                                                  // 00000002B4E0: BF8A0000
	ds_read_b32 v64, v7 offset:16896                           // 00000002B4E4: D86C4200 40000007
	ds_read_b32 v65, v7 offset:16960                           // 00000002B4EC: D86C4240 41000007
	ds_read_b32 v66, v7 offset:17024                           // 00000002B4F4: D86C4280 42000007
	ds_read_b32 v67, v7 offset:17088                           // 00000002B4FC: D86C42C0 43000007
	ds_read_b32 v68, v7 offset:17152                           // 00000002B504: D86C4300 44000007
	ds_read_b32 v69, v7 offset:17216                           // 00000002B50C: D86C4340 45000007
	ds_read_b32 v70, v7 offset:17280                           // 00000002B514: D86C4380 46000007
	ds_read_b32 v71, v7 offset:17344                           // 00000002B51C: D86C43C0 47000007
	ds_read_b32 v72, v7 offset:17408                           // 00000002B524: D86C4400 48000007
	ds_read_b32 v73, v7 offset:17472                           // 00000002B52C: D86C4440 49000007
	ds_read_b32 v74, v7 offset:17536                           // 00000002B534: D86C4480 4A000007
	ds_read_b32 v75, v7 offset:17600                           // 00000002B53C: D86C44C0 4B000007
	ds_read_b32 v76, v7 offset:17664                           // 00000002B544: D86C4500 4C000007
	ds_read_b32 v77, v7 offset:17728                           // 00000002B54C: D86C4540 4D000007
	ds_read_b32 v78, v7 offset:17792                           // 00000002B554: D86C4580 4E000007
	ds_read_b32 v79, v7 offset:17856                           // 00000002B55C: D86C45C0 4F000007
	v_mul_f32_e32 v176, v44, v176                              // 00000002B564: 0B61612C
	v_mul_f32_e32 v177, v44, v177                              // 00000002B568: 0B63632C
	v_mul_f32_e32 v178, v44, v178                              // 00000002B56C: 0B65652C
	v_mul_f32_e32 v179, v44, v179                              // 00000002B570: 0B67672C
	v_mul_f32_e32 v180, v44, v180                              // 00000002B574: 0B69692C
	v_mul_f32_e32 v181, v44, v181                              // 00000002B578: 0B6B6B2C
	v_mul_f32_e32 v182, v44, v182                              // 00000002B57C: 0B6D6D2C
	v_mul_f32_e32 v183, v44, v183                              // 00000002B580: 0B6F6F2C
	s_waitcnt lgkmcnt(0)                                       // 00000002B584: BF8CC07F
	v_max3_f32 v48, v64, v65, v48                              // 00000002B588: D1D30030 04C28340
	v_max3_f32 v48, v66, v67, v48                              // 00000002B590: D1D30030 04C28742
	v_max3_f32 v48, v68, v69, v48                              // 00000002B598: D1D30030 04C28B44
	v_max3_f32 v48, v70, v71, v48                              // 00000002B5A0: D1D30030 04C28F46
	v_max3_f32 v48, v72, v73, v48                              // 00000002B5A8: D1D30030 04C29348
	v_max3_f32 v48, v74, v75, v48                              // 00000002B5B0: D1D30030 04C2974A
	v_max3_f32 v48, v76, v77, v48                              // 00000002B5B8: D1D30030 04C29B4C
	v_max3_f32 v48, v78, v79, v48                              // 00000002B5C0: D1D30030 04C29F4E
	v_mov_b32_e32 v64, 0xff800000                              // 00000002B5C8: 7E8002FF FF800000
	v_cmp_eq_u32_e64 s[40:41], v64, v11                        // 00000002B5D0: D0CA0028 00021740
	s_nop 1                                                    // 00000002B5D8: BF800001
	v_max_f32_e32 v15, v48, v11                                // 00000002B5DC: 161E1730
	v_mul_f32_e32 v53, s64, v15                                // 00000002B5E0: 0A6A1E40
	v_fma_f32 v112, v112, s64, -v53                            // 00000002B5E4: D1CB0070 84D48170
	v_fma_f32 v113, v113, s64, -v53                            // 00000002B5EC: D1CB0071 84D48171
	v_fma_f32 v114, v114, s64, -v53                            // 00000002B5F4: D1CB0072 84D48172
	v_fma_f32 v115, v115, s64, -v53                            // 00000002B5FC: D1CB0073 84D48173
	v_fma_f32 v116, v116, s64, -v53                            // 00000002B604: D1CB0074 84D48174
	v_fma_f32 v117, v117, s64, -v53                            // 00000002B60C: D1CB0075 84D48175
	v_fma_f32 v118, v118, s64, -v53                            // 00000002B614: D1CB0076 84D48176
	v_fma_f32 v119, v119, s64, -v53                            // 00000002B61C: D1CB0077 84D48177
	v_fma_f32 v120, v120, s64, -v53                            // 00000002B624: D1CB0078 84D48178
	v_fma_f32 v121, v121, s64, -v53                            // 00000002B62C: D1CB0079 84D48179
	v_fma_f32 v122, v122, s64, -v53                            // 00000002B634: D1CB007A 84D4817A
	v_fma_f32 v123, v123, s64, -v53                            // 00000002B63C: D1CB007B 84D4817B
	v_fma_f32 v124, v124, s64, -v53                            // 00000002B644: D1CB007C 84D4817C
	v_fma_f32 v125, v125, s64, -v53                            // 00000002B64C: D1CB007D 84D4817D
	v_fma_f32 v126, v126, s64, -v53                            // 00000002B654: D1CB007E 84D4817E
	v_fma_f32 v127, v127, s64, -v53                            // 00000002B65C: D1CB007F 84D4817F
	v_exp_f32_e32 v112, v112                                   // 00000002B664: 7EE04170
	v_exp_f32_e32 v113, v113                                   // 00000002B668: 7EE24171
	v_exp_f32_e32 v114, v114                                   // 00000002B66C: 7EE44172
	v_exp_f32_e32 v115, v115                                   // 00000002B670: 7EE64173
	v_exp_f32_e32 v116, v116                                   // 00000002B674: 7EE84174
	v_exp_f32_e32 v117, v117                                   // 00000002B678: 7EEA4175
	v_exp_f32_e32 v118, v118                                   // 00000002B67C: 7EEC4176
	v_exp_f32_e32 v119, v119                                   // 00000002B680: 7EEE4177
	v_exp_f32_e32 v120, v120                                   // 00000002B684: 7EF04178
	v_exp_f32_e32 v121, v121                                   // 00000002B688: 7EF24179
	v_exp_f32_e32 v122, v122                                   // 00000002B68C: 7EF4417A
	v_exp_f32_e32 v123, v123                                   // 00000002B690: 7EF6417B
	v_exp_f32_e32 v124, v124                                   // 00000002B694: 7EF8417C
	v_exp_f32_e32 v125, v125                                   // 00000002B698: 7EFA417D
	v_exp_f32_e32 v126, v126                                   // 00000002B69C: 7EFC417E
	v_exp_f32_e32 v127, v127                                   // 00000002B6A0: 7EFE417F
	v_mul_f32_dpp v240, v252, v112 quad_perm:[0,0,0,0] row_mask:0xf bank_mask:0xf// 00000002B6A4: 0BE0E0FA FF0000FC
	v_mul_f32_dpp v241, v252, v113 quad_perm:[1,1,1,1] row_mask:0xf bank_mask:0xf// 00000002B6AC: 0BE2E2FA FF0055FC
	v_mul_f32_dpp v242, v252, v114 quad_perm:[2,2,2,2] row_mask:0xf bank_mask:0xf// 00000002B6B4: 0BE4E4FA FF00AAFC
	v_mul_f32_dpp v243, v252, v115 quad_perm:[3,3,3,3] row_mask:0xf bank_mask:0xf// 00000002B6BC: 0BE6E6FA FF00FFFC
	v_mul_f32_dpp v244, v253, v116 quad_perm:[0,0,0,0] row_mask:0xf bank_mask:0xf// 00000002B6C4: 0BE8E8FA FF0000FD
	v_mul_f32_dpp v245, v253, v117 quad_perm:[1,1,1,1] row_mask:0xf bank_mask:0xf// 00000002B6CC: 0BEAEAFA FF0055FD
	v_mul_f32_dpp v246, v253, v118 quad_perm:[2,2,2,2] row_mask:0xf bank_mask:0xf// 00000002B6D4: 0BECECFA FF00AAFD
	v_mul_f32_dpp v247, v253, v119 quad_perm:[3,3,3,3] row_mask:0xf bank_mask:0xf// 00000002B6DC: 0BEEEEFA FF00FFFD
	v_mul_f32_dpp v248, v254, v120 quad_perm:[0,0,0,0] row_mask:0xf bank_mask:0xf// 00000002B6E4: 0BF0F0FA FF0000FE
	v_mul_f32_dpp v249, v254, v121 quad_perm:[1,1,1,1] row_mask:0xf bank_mask:0xf// 00000002B6EC: 0BF2F2FA FF0055FE
	v_mul_f32_dpp v250, v254, v122 quad_perm:[2,2,2,2] row_mask:0xf bank_mask:0xf// 00000002B6F4: 0BF4F4FA FF00AAFE
	v_mul_f32_dpp v251, v254, v123 quad_perm:[3,3,3,3] row_mask:0xf bank_mask:0xf// 00000002B6FC: 0BF6F6FA FF00FFFE
	v_mul_f32_dpp v252, v255, v124 quad_perm:[0,0,0,0] row_mask:0xf bank_mask:0xf// 00000002B704: 0BF8F8FA FF0000FF
	v_mul_f32_dpp v253, v255, v125 quad_perm:[1,1,1,1] row_mask:0xf bank_mask:0xf// 00000002B70C: 0BFAFAFA FF0055FF
	v_mul_f32_dpp v254, v255, v126 quad_perm:[2,2,2,2] row_mask:0xf bank_mask:0xf// 00000002B714: 0BFCFCFA FF00AAFF
	v_mul_f32_dpp v255, v255, v127 quad_perm:[3,3,3,3] row_mask:0xf bank_mask:0xf// 00000002B71C: 0BFEFEFA FF00FFFF
	v_mov_b32_e32 v48, 0x358637bd                              // 00000002B724: 7E6002FF 358637BD
	v_max3_f32 v48, |v240|, |v241|, v48                        // 00000002B72C: D1D30330 04C3E3F0
	v_max3_f32 v48, |v242|, |v243|, v48                        // 00000002B734: D1D30330 04C3E7F2
	v_max3_f32 v48, |v244|, |v245|, v48                        // 00000002B73C: D1D30330 04C3EBF4
	v_max3_f32 v48, |v246|, |v247|, v48                        // 00000002B744: D1D30330 04C3EFF6
	v_max3_f32 v48, |v248|, |v249|, v48                        // 00000002B74C: D1D30330 04C3F3F8
	v_max3_f32 v48, |v250|, |v251|, v48                        // 00000002B754: D1D30330 04C3F7FA
	v_max3_f32 v48, |v252|, |v253|, v48                        // 00000002B75C: D1D30330 04C3FBFC
	v_max3_f32 v48, |v254|, |v255|, v48                        // 00000002B764: D1D30330 04C3FFFE
	ds_write_b32 v8, v48 offset:20992                          // 00000002B76C: D81A5200 00003008
	v_sub_f32_e32 v49, v11, v15                                // 00000002B774: 04621F0B
	v_cndmask_b32_e64 v49, v49, 0, s[40:41]                    // 00000002B778: D1000031 00A10131
	v_mov_b32_e32 v11, v15                                     // 00000002B780: 7E16030F
	v_mul_f32_e32 v49, s64, v49                                // 00000002B784: 0A626240
	v_exp_f32_e32 v49, v49                                     // 00000002B788: 7E624131
	s_waitcnt lgkmcnt(0)                                       // 00000002B78C: BF8CC07F
	s_barrier                                                  // 00000002B790: BF8A0000
	ds_read_b32 v64, v7 offset:20992                           // 00000002B794: D86C5200 40000007
	ds_read_b32 v65, v7 offset:21056                           // 00000002B79C: D86C5240 41000007
	ds_read_b32 v66, v7 offset:21120                           // 00000002B7A4: D86C5280 42000007
	ds_read_b32 v67, v7 offset:21184                           // 00000002B7AC: D86C52C0 43000007
	ds_read_b32 v68, v7 offset:21248                           // 00000002B7B4: D86C5300 44000007
	ds_read_b32 v69, v7 offset:21312                           // 00000002B7BC: D86C5340 45000007
	ds_read_b32 v70, v7 offset:21376                           // 00000002B7C4: D86C5380 46000007
	ds_read_b32 v71, v7 offset:21440                           // 00000002B7CC: D86C53C0 47000007
	ds_read_b32 v72, v7 offset:21504                           // 00000002B7D4: D86C5400 48000007
	ds_read_b32 v73, v7 offset:21568                           // 00000002B7DC: D86C5440 49000007
	ds_read_b32 v74, v7 offset:21632                           // 00000002B7E4: D86C5480 4A000007
	ds_read_b32 v75, v7 offset:21696                           // 00000002B7EC: D86C54C0 4B000007
	ds_read_b32 v76, v7 offset:21760                           // 00000002B7F4: D86C5500 4C000007
	ds_read_b32 v77, v7 offset:21824                           // 00000002B7FC: D86C5540 4D000007
	ds_read_b32 v78, v7 offset:21888                           // 00000002B804: D86C5580 4E000007
	ds_read_b32 v79, v7 offset:21952                           // 00000002B80C: D86C55C0 4F000007
	v_mul_f32_e32 v38, v49, v38                                // 00000002B814: 0A4C4D31
	v_mov_b32_e32 v15, v112                                    // 00000002B818: 7E1E0370
	v_add_f32_e32 v15, v113, v15                               // 00000002B81C: 021E1F71
	v_add_f32_e32 v15, v114, v15                               // 00000002B820: 021E1F72
	v_add_f32_e32 v15, v115, v15                               // 00000002B824: 021E1F73
	v_add_f32_e32 v15, v116, v15                               // 00000002B828: 021E1F74
	v_add_f32_e32 v15, v117, v15                               // 00000002B82C: 021E1F75
	v_add_f32_e32 v15, v118, v15                               // 00000002B830: 021E1F76
	v_add_f32_e32 v15, v119, v15                               // 00000002B834: 021E1F77
	v_add_f32_e32 v15, v120, v15                               // 00000002B838: 021E1F78
	v_add_f32_e32 v15, v121, v15                               // 00000002B83C: 021E1F79
	v_add_f32_e32 v15, v122, v15                               // 00000002B840: 021E1F7A
	v_add_f32_e32 v15, v123, v15                               // 00000002B844: 021E1F7B
	v_add_f32_e32 v15, v124, v15                               // 00000002B848: 021E1F7C
	v_add_f32_e32 v15, v125, v15                               // 00000002B84C: 021E1F7D
	v_add_f32_e32 v15, v126, v15                               // 00000002B850: 021E1F7E
	v_add_f32_e32 v15, v127, v15                               // 00000002B854: 021E1F7F
	v_add_f32_e32 v38, v15, v38                                // 00000002B858: 024C4D0F
	s_waitcnt lgkmcnt(0)                                       // 00000002B85C: BF8CC07F
	v_max3_f32 v48, |v64|, |v65|, v48                          // 00000002B860: D1D30330 04C28340
	v_max3_f32 v48, |v66|, |v67|, v48                          // 00000002B868: D1D30330 04C28742
	v_max3_f32 v48, |v68|, |v69|, v48                          // 00000002B870: D1D30330 04C28B44
	v_max3_f32 v48, |v70|, |v71|, v48                          // 00000002B878: D1D30330 04C28F46
	v_max3_f32 v48, |v72|, |v73|, v48                          // 00000002B880: D1D30330 04C29348
	v_max3_f32 v48, |v74|, |v75|, v48                          // 00000002B888: D1D30330 04C2974A
	v_max3_f32 v48, |v76|, |v77|, v48                          // 00000002B890: D1D30330 04C29B4C
	v_max3_f32 v48, |v78|, |v79|, v48                          // 00000002B898: D1D30330 04C29F4E
	s_nop 2                                                    // 00000002B8A0: BF800002
	v_rcp_f32_e32 v48, v48                                     // 00000002B8A4: 7E604530
	s_nop 1                                                    // 00000002B8A8: BF800001
	v_mul_f32_e32 v48, 0x43e00000, v48                         // 00000002B8AC: 0A6060FF 43E00000
	v_mul_f32_e32 v112, v48, v240                              // 00000002B8B4: 0AE1E130
	v_mul_f32_e32 v113, v48, v241                              // 00000002B8B8: 0AE3E330
	v_mul_f32_e32 v114, v48, v242                              // 00000002B8BC: 0AE5E530
	v_mul_f32_e32 v115, v48, v243                              // 00000002B8C0: 0AE7E730
	v_mul_f32_e32 v116, v48, v244                              // 00000002B8C4: 0AE9E930
	v_mul_f32_e32 v117, v48, v245                              // 00000002B8C8: 0AEBEB30
	v_mul_f32_e32 v118, v48, v246                              // 00000002B8CC: 0AEDED30
	v_mul_f32_e32 v119, v48, v247                              // 00000002B8D0: 0AEFEF30
	v_mul_f32_e32 v120, v48, v248                              // 00000002B8D4: 0AF1F130
	v_mul_f32_e32 v121, v48, v249                              // 00000002B8D8: 0AF3F330
	v_mul_f32_e32 v122, v48, v250                              // 00000002B8DC: 0AF5F530
	v_mul_f32_e32 v123, v48, v251                              // 00000002B8E0: 0AF7F730
	v_mul_f32_e32 v124, v48, v252                              // 00000002B8E4: 0AF9F930
	v_mul_f32_e32 v125, v48, v253                              // 00000002B8E8: 0AFBFB30
	v_mul_f32_e32 v126, v48, v254                              // 00000002B8EC: 0AFDFD30
	v_mul_f32_e32 v127, v48, v255                              // 00000002B8F0: 0AFFFF30
	v_cvt_pk_fp8_f32 v112, v112, v113                          // 00000002B8F4: D2A20070 0002E370
	v_cvt_pk_fp8_f32 v112, v114, v115 op_sel:[0,0,1]           // 00000002B8FC: D2A24070 0002E772
	v_cvt_pk_fp8_f32 v113, v116, v117                          // 00000002B904: D2A20071 0002EB74
	v_cvt_pk_fp8_f32 v113, v118, v119 op_sel:[0,0,1]           // 00000002B90C: D2A24071 0002EF76
	v_cvt_pk_fp8_f32 v114, v120, v121                          // 00000002B914: D2A20072 0002F378
	v_cvt_pk_fp8_f32 v114, v122, v123 op_sel:[0,0,1]           // 00000002B91C: D2A24072 0002F77A
	v_cvt_pk_fp8_f32 v115, v124, v125                          // 00000002B924: D2A20073 0002FB7C
	v_cvt_pk_fp8_f32 v115, v126, v127 op_sel:[0,0,1]           // 00000002B92C: D2A24073 0002FF7E
	ds_write_b32 v10, v112 offset:25088                        // 00000002B934: D81A6200 0000700A
	ds_write_b32 v10, v113 offset:26112                        // 00000002B93C: D81A6600 0000710A
	ds_write_b32 v10, v114 offset:27136                        // 00000002B944: D81A6A00 0000720A
	ds_write_b32 v10, v115 offset:28160                        // 00000002B94C: D81A6E00 0000730A
	v_add_f32_e32 v208, v208, v176                             // 00000002B954: 03A161D0
	v_add_f32_e32 v209, v209, v177                             // 00000002B958: 03A363D1
	v_add_f32_e32 v210, v210, v178                             // 00000002B95C: 03A565D2
	v_add_f32_e32 v211, v211, v179                             // 00000002B960: 03A767D3
	v_add_f32_e32 v212, v212, v180                             // 00000002B964: 03A969D4
	v_add_f32_e32 v213, v213, v181                             // 00000002B968: 03AB6BD5
	v_add_f32_e32 v214, v214, v182                             // 00000002B96C: 03AD6DD6
	v_add_f32_e32 v215, v215, v183                             // 00000002B970: 03AF6FD7
	v_rcp_f32_e32 v44, v48                                     // 00000002B974: 7E584530
	s_waitcnt lgkmcnt(0)                                       // 00000002B978: BF8CC07F
	s_barrier                                                  // 00000002B97C: BF8A0000
	ds_read_b64 v[112:113], v9 offset:25088                    // 00000002B980: D8EC6200 70000009
	ds_read_b64 v[114:115], v9 offset:25216                    // 00000002B988: D8EC6280 72000009
	ds_read_b64 v[116:117], v9 offset:26112                    // 00000002B990: D8EC6600 74000009
	ds_read_b64 v[118:119], v9 offset:26240                    // 00000002B998: D8EC6680 76000009
	ds_read_b64 v[120:121], v9 offset:27136                    // 00000002B9A0: D8EC6A00 78000009
	ds_read_b64 v[122:123], v9 offset:27264                    // 00000002B9A8: D8EC6A80 7A000009
	ds_read_b64 v[124:125], v9 offset:28160                    // 00000002B9B0: D8EC6E00 7C000009
	ds_read_b64 v[126:127], v9 offset:28288                    // 00000002B9B8: D8EC6E80 7E000009
	v_mov_b32_dpp v64, v43 row_shr:4 row_mask:0xf bank_mask:0xf// 00000002B9C0: 7E8002FA FF01142B
	v_mov_b32_dpp v65, v43 row_shl:4 row_mask:0xf bank_mask:0xf// 00000002B9C8: 7E8202FA FF01042B
	v_cndmask_b32_e64 v248, v43, v64, s[44:45]                 // 00000002B9D0: D10000F8 00B2812B
	v_cndmask_b32_e64 v249, v65, v43, s[44:45]                 // 00000002B9D8: D10000F9 00B25741
	v_mov_b32_dpp v64, v248 row_shr:8 row_mask:0xf bank_mask:0xf// 00000002B9E0: 7E8002FA FF0118F8
	v_mov_b32_dpp v65, v248 row_shl:8 row_mask:0xf bank_mask:0xf// 00000002B9E8: 7E8202FA FF0108F8
	v_mov_b32_dpp v66, v249 row_shr:8 row_mask:0xf bank_mask:0xf// 00000002B9F0: 7E8402FA FF0118F9
	v_mov_b32_dpp v67, v249 row_shl:8 row_mask:0xf bank_mask:0xf// 00000002B9F8: 7E8602FA FF0108F9
	v_mov_b32_e32 v68, v248                                    // 00000002BA00: 7E8803F8
	v_mov_b32_e32 v69, v249                                    // 00000002BA04: 7E8A03F9
	v_cndmask_b32_e64 v248, v68, v64, s[42:43]                 // 00000002BA08: D10000F8 00AA8144
	v_cndmask_b32_e64 v250, v68, v65, s[78:79]                 // 00000002BA10: D10000FA 013A8344
	v_cndmask_b32_e64 v249, v69, v66, s[42:43]                 // 00000002BA18: D10000F9 00AA8545
	v_cndmask_b32_e64 v251, v69, v67, s[78:79]                 // 00000002BA20: D10000FB 013A8745
	v_mov_b32_dpp v64, v58 row_shr:4 row_mask:0xf bank_mask:0xf// 00000002BA28: 7E8002FA FF01143A
	v_mov_b32_dpp v65, v58 row_shl:4 row_mask:0xf bank_mask:0xf// 00000002BA30: 7E8202FA FF01043A
	v_cndmask_b32_e64 v252, v58, v64, s[44:45]                 // 00000002BA38: D10000FC 00B2813A
	v_cndmask_b32_e64 v253, v65, v58, s[44:45]                 // 00000002BA40: D10000FD 00B27541
	v_mov_b32_dpp v64, v252 row_shr:8 row_mask:0xf bank_mask:0xf// 00000002BA48: 7E8002FA FF0118FC
	v_mov_b32_dpp v65, v252 row_shl:8 row_mask:0xf bank_mask:0xf// 00000002BA50: 7E8202FA FF0108FC
	v_mov_b32_dpp v66, v253 row_shr:8 row_mask:0xf bank_mask:0xf// 00000002BA58: 7E8402FA FF0118FD
	v_mov_b32_dpp v67, v253 row_shl:8 row_mask:0xf bank_mask:0xf// 00000002BA60: 7E8602FA FF0108FD
	v_mov_b32_e32 v68, v252                                    // 00000002BA68: 7E8803FC
	v_mov_b32_e32 v69, v253                                    // 00000002BA6C: 7E8A03FD
	v_cndmask_b32_e64 v252, v68, v64, s[42:43]                 // 00000002BA70: D10000FC 00AA8144
	v_cndmask_b32_e64 v254, v68, v65, s[78:79]                 // 00000002BA78: D10000FE 013A8344
	v_cndmask_b32_e64 v253, v69, v66, s[42:43]                 // 00000002BA80: D10000FD 00AA8545
	v_cndmask_b32_e64 v255, v69, v67, s[78:79]                 // 00000002BA88: D10000FF 013A8745
	v_mul_f32_e32 v128, v19, v128                              // 00000002BA90: 0B010113
	v_mul_f32_e32 v129, v19, v129                              // 00000002BA94: 0B030313
	v_mul_f32_e32 v130, v19, v130                              // 00000002BA98: 0B050513
	v_mul_f32_e32 v131, v19, v131                              // 00000002BA9C: 0B070713
	v_mul_f32_e32 v132, v19, v132                              // 00000002BAA0: 0B090913
	v_mul_f32_e32 v133, v19, v133                              // 00000002BAA4: 0B0B0B13
	v_mul_f32_e32 v134, v19, v134                              // 00000002BAA8: 0B0D0D13
	v_mul_f32_e32 v135, v19, v135                              // 00000002BAAC: 0B0F0F13
	v_mul_f32_e32 v136, v19, v136                              // 00000002BAB0: 0B111113
	v_mul_f32_e32 v137, v19, v137                              // 00000002BAB4: 0B131313
	v_mul_f32_e32 v138, v19, v138                              // 00000002BAB8: 0B151513
	v_mul_f32_e32 v139, v19, v139                              // 00000002BABC: 0B171713
	v_mul_f32_e32 v140, v19, v140                              // 00000002BAC0: 0B191913
	v_mul_f32_e32 v141, v19, v141                              // 00000002BAC4: 0B1B1B13
	v_mul_f32_e32 v142, v19, v142                              // 00000002BAC8: 0B1D1D13
	v_mul_f32_e32 v143, v19, v143                              // 00000002BACC: 0B1F1F13
	v_mul_f32_dpp v128, v248, v128 quad_perm:[0,0,0,0] row_mask:0xf bank_mask:0xf// 00000002BAD0: 0B0100FA FF0000F8
	v_mul_f32_dpp v129, v248, v129 quad_perm:[1,1,1,1] row_mask:0xf bank_mask:0xf// 00000002BAD8: 0B0302FA FF0055F8
	v_mul_f32_dpp v130, v248, v130 quad_perm:[2,2,2,2] row_mask:0xf bank_mask:0xf// 00000002BAE0: 0B0504FA FF00AAF8
	v_mul_f32_dpp v131, v248, v131 quad_perm:[3,3,3,3] row_mask:0xf bank_mask:0xf// 00000002BAE8: 0B0706FA FF00FFF8
	v_mul_f32_dpp v132, v249, v132 quad_perm:[0,0,0,0] row_mask:0xf bank_mask:0xf// 00000002BAF0: 0B0908FA FF0000F9
	v_mul_f32_dpp v133, v249, v133 quad_perm:[1,1,1,1] row_mask:0xf bank_mask:0xf// 00000002BAF8: 0B0B0AFA FF0055F9
	v_mul_f32_dpp v134, v249, v134 quad_perm:[2,2,2,2] row_mask:0xf bank_mask:0xf// 00000002BB00: 0B0D0CFA FF00AAF9
	v_mul_f32_dpp v135, v249, v135 quad_perm:[3,3,3,3] row_mask:0xf bank_mask:0xf// 00000002BB08: 0B0F0EFA FF00FFF9
	v_mul_f32_dpp v136, v250, v136 quad_perm:[0,0,0,0] row_mask:0xf bank_mask:0xf// 00000002BB10: 0B1110FA FF0000FA
	v_mul_f32_dpp v137, v250, v137 quad_perm:[1,1,1,1] row_mask:0xf bank_mask:0xf// 00000002BB18: 0B1312FA FF0055FA
	v_mul_f32_dpp v138, v250, v138 quad_perm:[2,2,2,2] row_mask:0xf bank_mask:0xf// 00000002BB20: 0B1514FA FF00AAFA
	v_mul_f32_dpp v139, v250, v139 quad_perm:[3,3,3,3] row_mask:0xf bank_mask:0xf// 00000002BB28: 0B1716FA FF00FFFA
	v_mul_f32_dpp v140, v251, v140 quad_perm:[0,0,0,0] row_mask:0xf bank_mask:0xf// 00000002BB30: 0B1918FA FF0000FB
	v_mul_f32_dpp v141, v251, v141 quad_perm:[1,1,1,1] row_mask:0xf bank_mask:0xf// 00000002BB38: 0B1B1AFA FF0055FB
	v_mul_f32_dpp v142, v251, v142 quad_perm:[2,2,2,2] row_mask:0xf bank_mask:0xf// 00000002BB40: 0B1D1CFA FF00AAFB
	v_mul_f32_dpp v143, v251, v143 quad_perm:[3,3,3,3] row_mask:0xf bank_mask:0xf// 00000002BB48: 0B1F1EFA FF00FFFB
	s_cmp_le_i32 s90, s89                                      // 00000002BB50: BF05595A
	s_cbranch_scc1 label_A6C7                                  // 00000002BB54: BF850071
	v_mov_b32_e32 v66, 0xff800000                              // 00000002BB58: 7E8402FF FF800000
	s_mov_b32 s60, s90                                         // 00000002BB60: BEBC005A
	s_add_u32 s61, s89, 0xff                                   // 00000002BB64: 803DFF59 000000FF
	v_mov_b32_e32 v64, s61                                     // 00000002BB6C: 7E80023D
	v_lshrrev_b32_e32 v240, 4, v0                              // 00000002BB70: 21E00084
	v_mul_i32_i24_e32 v240, 4, v240                            // 00000002BB74: 0DE1E084
	v_add_u32_e32 v240, s60, v240                              // 00000002BB78: 69E1E03C
	s_mov_b32 s61, 1                                           // 00000002BB7C: BEBD0081
	s_mul_i32 s60, 16, s7                                      // 00000002BB80: 923C0790
	v_sub_u32_e64 v240, v240, s61                              // 00000002BB84: D13500F0 00007BF0
	v_add_u32_e32 v240, s60, v240                              // 00000002BB8C: 69E1E03C
	v_add_u32_e32 v241, 1, v240                                // 00000002BB90: 69E3E081
	v_add_u32_e32 v242, 2, v240                                // 00000002BB94: 69E5E082
	v_add_u32_e32 v243, 3, v240                                // 00000002BB98: 69E7E083
	v_cmp_le_u32_e64 s[40:41], v240, v64                       // 00000002BB9C: D0CB0028 000281F0
	v_add_u32_e32 v240, 64, v240                               // 00000002BBA4: 69E1E0C0
	s_nop 0                                                    // 00000002BBA8: BF800000
	v_cndmask_b32_e64 v128, v66, v128, s[40:41]                // 00000002BBAC: D1000080 00A30142
	v_cmp_le_u32_e64 s[40:41], v241, v64                       // 00000002BBB4: D0CB0028 000281F1
	v_add_u32_e32 v241, 64, v241                               // 00000002BBBC: 69E3E2C0
	s_nop 0                                                    // 00000002BBC0: BF800000
	v_cndmask_b32_e64 v129, v66, v129, s[40:41]                // 00000002BBC4: D1000081 00A30342
	v_cmp_le_u32_e64 s[40:41], v242, v64                       // 00000002BBCC: D0CB0028 000281F2
	v_add_u32_e32 v242, 64, v242                               // 00000002BBD4: 69E5E4C0
	s_nop 0                                                    // 00000002BBD8: BF800000
	v_cndmask_b32_e64 v130, v66, v130, s[40:41]                // 00000002BBDC: D1000082 00A30542
	v_cmp_le_u32_e64 s[40:41], v243, v64                       // 00000002BBE4: D0CB0028 000281F3
	v_add_u32_e32 v243, 64, v243                               // 00000002BBEC: 69E7E6C0
	s_nop 0                                                    // 00000002BBF0: BF800000
	v_cndmask_b32_e64 v131, v66, v131, s[40:41]                // 00000002BBF4: D1000083 00A30742
	v_cmp_le_u32_e64 s[40:41], v240, v64                       // 00000002BBFC: D0CB0028 000281F0
	v_add_u32_e32 v240, 64, v240                               // 00000002BC04: 69E1E0C0
	s_nop 0                                                    // 00000002BC08: BF800000
	v_cndmask_b32_e64 v132, v66, v132, s[40:41]                // 00000002BC0C: D1000084 00A30942
	v_cmp_le_u32_e64 s[40:41], v241, v64                       // 00000002BC14: D0CB0028 000281F1
	v_add_u32_e32 v241, 64, v241                               // 00000002BC1C: 69E3E2C0
	s_nop 0                                                    // 00000002BC20: BF800000
	v_cndmask_b32_e64 v133, v66, v133, s[40:41]                // 00000002BC24: D1000085 00A30B42
	v_cmp_le_u32_e64 s[40:41], v242, v64                       // 00000002BC2C: D0CB0028 000281F2
	v_add_u32_e32 v242, 64, v242                               // 00000002BC34: 69E5E4C0
	s_nop 0                                                    // 00000002BC38: BF800000
	v_cndmask_b32_e64 v134, v66, v134, s[40:41]                // 00000002BC3C: D1000086 00A30D42
	v_cmp_le_u32_e64 s[40:41], v243, v64                       // 00000002BC44: D0CB0028 000281F3
	v_add_u32_e32 v243, 64, v243                               // 00000002BC4C: 69E7E6C0
	s_nop 0                                                    // 00000002BC50: BF800000
	v_cndmask_b32_e64 v135, v66, v135, s[40:41]                // 00000002BC54: D1000087 00A30F42
	v_cmp_le_u32_e64 s[40:41], v240, v64                       // 00000002BC5C: D0CB0028 000281F0
	v_add_u32_e32 v240, 64, v240                               // 00000002BC64: 69E1E0C0
	s_nop 0                                                    // 00000002BC68: BF800000
	v_cndmask_b32_e64 v136, v66, v136, s[40:41]                // 00000002BC6C: D1000088 00A31142
	v_cmp_le_u32_e64 s[40:41], v241, v64                       // 00000002BC74: D0CB0028 000281F1
	v_add_u32_e32 v241, 64, v241                               // 00000002BC7C: 69E3E2C0
	s_nop 0                                                    // 00000002BC80: BF800000
	v_cndmask_b32_e64 v137, v66, v137, s[40:41]                // 00000002BC84: D1000089 00A31342
	v_cmp_le_u32_e64 s[40:41], v242, v64                       // 00000002BC8C: D0CB0028 000281F2
	v_add_u32_e32 v242, 64, v242                               // 00000002BC94: 69E5E4C0
	s_nop 0                                                    // 00000002BC98: BF800000
	v_cndmask_b32_e64 v138, v66, v138, s[40:41]                // 00000002BC9C: D100008A 00A31542
	v_cmp_le_u32_e64 s[40:41], v243, v64                       // 00000002BCA4: D0CB0028 000281F3
	v_add_u32_e32 v243, 64, v243                               // 00000002BCAC: 69E7E6C0
	s_nop 0                                                    // 00000002BCB0: BF800000
	v_cndmask_b32_e64 v139, v66, v139, s[40:41]                // 00000002BCB4: D100008B 00A31742
	v_cmp_le_u32_e64 s[40:41], v240, v64                       // 00000002BCBC: D0CB0028 000281F0
	v_add_u32_e32 v240, 64, v240                               // 00000002BCC4: 69E1E0C0
	s_nop 0                                                    // 00000002BCC8: BF800000
	v_cndmask_b32_e64 v140, v66, v140, s[40:41]                // 00000002BCCC: D100008C 00A31942
	v_cmp_le_u32_e64 s[40:41], v241, v64                       // 00000002BCD4: D0CB0028 000281F1
	v_add_u32_e32 v241, 64, v241                               // 00000002BCDC: 69E3E2C0
	s_nop 0                                                    // 00000002BCE0: BF800000
	v_cndmask_b32_e64 v141, v66, v141, s[40:41]                // 00000002BCE4: D100008D 00A31B42
	v_cmp_le_u32_e64 s[40:41], v242, v64                       // 00000002BCEC: D0CB0028 000281F2
	v_add_u32_e32 v242, 64, v242                               // 00000002BCF4: 69E5E4C0
	s_nop 0                                                    // 00000002BCF8: BF800000
	v_cndmask_b32_e64 v142, v66, v142, s[40:41]                // 00000002BCFC: D100008E 00A31D42
	v_cmp_le_u32_e64 s[40:41], v243, v64                       // 00000002BD04: D0CB0028 000281F3
	v_add_u32_e32 v243, 64, v243                               // 00000002BD0C: 69E7E6C0
	s_nop 0                                                    // 00000002BD10: BF800000
	v_cndmask_b32_e64 v143, v66, v143, s[40:41]                // 00000002BD14: D100008F 00A31F42

000000000002bd1c <label_A6C7>:
	s_and_b32 s60, s72, 0xff                                   // 00000002BD1C: 863CFF48 000000FF
	v_mov_b32_e32 v65, s60                                     // 00000002BD24: 7E82023C
	v_lshrrev_b32_e32 v240, 4, v0                              // 00000002BD28: 21E00084
	v_mul_i32_i24_e32 v240, 4, v240                            // 00000002BD2C: 0DE1E084
	s_mul_i32 s60, s7, 16                                      // 00000002BD30: 923C9007
	v_add_u32_e32 v240, s60, v240                              // 00000002BD34: 69E1E03C
	v_add_u32_e32 v241, 1, v240                                // 00000002BD38: 69E3E081
	v_add_u32_e32 v242, 2, v240                                // 00000002BD3C: 69E5E082
	v_add_u32_e32 v243, 3, v240                                // 00000002BD40: 69E7E083
	v_mov_b32_e32 v64, 0xff800000                              // 00000002BD44: 7E8002FF FF800000
	v_cmp_lt_u32_e64 s[40:41], v240, v65                       // 00000002BD4C: D0C90028 000283F0
	v_add_u32_e32 v240, 64, v240                               // 00000002BD54: 69E1E0C0
	s_nop 0                                                    // 00000002BD58: BF800000
	v_cndmask_b32_e64 v128, v64, v128, s[40:41]                // 00000002BD5C: D1000080 00A30140
	v_cmp_lt_u32_e64 s[40:41], v241, v65                       // 00000002BD64: D0C90028 000283F1
	v_add_u32_e32 v241, 64, v241                               // 00000002BD6C: 69E3E2C0
	s_nop 0                                                    // 00000002BD70: BF800000
	v_cndmask_b32_e64 v129, v64, v129, s[40:41]                // 00000002BD74: D1000081 00A30340
	v_cmp_lt_u32_e64 s[40:41], v242, v65                       // 00000002BD7C: D0C90028 000283F2
	v_add_u32_e32 v242, 64, v242                               // 00000002BD84: 69E5E4C0
	s_nop 0                                                    // 00000002BD88: BF800000
	v_cndmask_b32_e64 v130, v64, v130, s[40:41]                // 00000002BD8C: D1000082 00A30540
	v_cmp_lt_u32_e64 s[40:41], v243, v65                       // 00000002BD94: D0C90028 000283F3
	v_add_u32_e32 v243, 64, v243                               // 00000002BD9C: 69E7E6C0
	s_nop 0                                                    // 00000002BDA0: BF800000
	v_cndmask_b32_e64 v131, v64, v131, s[40:41]                // 00000002BDA4: D1000083 00A30740
	v_cmp_lt_u32_e64 s[40:41], v240, v65                       // 00000002BDAC: D0C90028 000283F0
	v_add_u32_e32 v240, 64, v240                               // 00000002BDB4: 69E1E0C0
	s_nop 0                                                    // 00000002BDB8: BF800000
	v_cndmask_b32_e64 v132, v64, v132, s[40:41]                // 00000002BDBC: D1000084 00A30940
	v_cmp_lt_u32_e64 s[40:41], v241, v65                       // 00000002BDC4: D0C90028 000283F1
	v_add_u32_e32 v241, 64, v241                               // 00000002BDCC: 69E3E2C0
	s_nop 0                                                    // 00000002BDD0: BF800000
	v_cndmask_b32_e64 v133, v64, v133, s[40:41]                // 00000002BDD4: D1000085 00A30B40
	v_cmp_lt_u32_e64 s[40:41], v242, v65                       // 00000002BDDC: D0C90028 000283F2
	v_add_u32_e32 v242, 64, v242                               // 00000002BDE4: 69E5E4C0
	s_nop 0                                                    // 00000002BDE8: BF800000
	v_cndmask_b32_e64 v134, v64, v134, s[40:41]                // 00000002BDEC: D1000086 00A30D40
	v_cmp_lt_u32_e64 s[40:41], v243, v65                       // 00000002BDF4: D0C90028 000283F3
	v_add_u32_e32 v243, 64, v243                               // 00000002BDFC: 69E7E6C0
	s_nop 0                                                    // 00000002BE00: BF800000
	v_cndmask_b32_e64 v135, v64, v135, s[40:41]                // 00000002BE04: D1000087 00A30F40
	v_cmp_lt_u32_e64 s[40:41], v240, v65                       // 00000002BE0C: D0C90028 000283F0
	v_add_u32_e32 v240, 64, v240                               // 00000002BE14: 69E1E0C0
	s_nop 0                                                    // 00000002BE18: BF800000
	v_cndmask_b32_e64 v136, v64, v136, s[40:41]                // 00000002BE1C: D1000088 00A31140
	v_cmp_lt_u32_e64 s[40:41], v241, v65                       // 00000002BE24: D0C90028 000283F1
	v_add_u32_e32 v241, 64, v241                               // 00000002BE2C: 69E3E2C0
	s_nop 0                                                    // 00000002BE30: BF800000
	v_cndmask_b32_e64 v137, v64, v137, s[40:41]                // 00000002BE34: D1000089 00A31340
	v_cmp_lt_u32_e64 s[40:41], v242, v65                       // 00000002BE3C: D0C90028 000283F2
	v_add_u32_e32 v242, 64, v242                               // 00000002BE44: 69E5E4C0
	s_nop 0                                                    // 00000002BE48: BF800000
	v_cndmask_b32_e64 v138, v64, v138, s[40:41]                // 00000002BE4C: D100008A 00A31540
	v_cmp_lt_u32_e64 s[40:41], v243, v65                       // 00000002BE54: D0C90028 000283F3
	v_add_u32_e32 v243, 64, v243                               // 00000002BE5C: 69E7E6C0
	s_nop 0                                                    // 00000002BE60: BF800000
	v_cndmask_b32_e64 v139, v64, v139, s[40:41]                // 00000002BE64: D100008B 00A31740
	v_cmp_lt_u32_e64 s[40:41], v240, v65                       // 00000002BE6C: D0C90028 000283F0
	v_add_u32_e32 v240, 64, v240                               // 00000002BE74: 69E1E0C0
	s_nop 0                                                    // 00000002BE78: BF800000
	v_cndmask_b32_e64 v140, v64, v140, s[40:41]                // 00000002BE7C: D100008C 00A31940
	v_cmp_lt_u32_e64 s[40:41], v241, v65                       // 00000002BE84: D0C90028 000283F1
	v_add_u32_e32 v241, 64, v241                               // 00000002BE8C: 69E3E2C0
	s_nop 0                                                    // 00000002BE90: BF800000
	v_cndmask_b32_e64 v141, v64, v141, s[40:41]                // 00000002BE94: D100008D 00A31B40
	v_cmp_lt_u32_e64 s[40:41], v242, v65                       // 00000002BE9C: D0C90028 000283F2
	v_add_u32_e32 v242, 64, v242                               // 00000002BEA4: 69E5E4C0
	s_nop 0                                                    // 00000002BEA8: BF800000
	v_cndmask_b32_e64 v142, v64, v142, s[40:41]                // 00000002BEAC: D100008E 00A31D40
	v_cmp_lt_u32_e64 s[40:41], v243, v65                       // 00000002BEB4: D0C90028 000283F3
	v_add_u32_e32 v243, 64, v243                               // 00000002BEBC: 69E7E6C0
	s_nop 0                                                    // 00000002BEC0: BF800000
	v_cndmask_b32_e64 v143, v64, v143, s[40:41]                // 00000002BEC4: D100008F 00A31F40
	v_mov_b32_e32 v48, v128                                    // 00000002BECC: 7E600380
	v_max3_f32 v48, v128, v129, v48                            // 00000002BED0: D1D30030 04C30380
	v_max3_f32 v48, v130, v131, v48                            // 00000002BED8: D1D30030 04C30782
	v_max3_f32 v48, v132, v133, v48                            // 00000002BEE0: D1D30030 04C30B84
	v_max3_f32 v48, v134, v135, v48                            // 00000002BEE8: D1D30030 04C30F86
	v_max3_f32 v48, v136, v137, v48                            // 00000002BEF0: D1D30030 04C31388
	v_max3_f32 v48, v138, v139, v48                            // 00000002BEF8: D1D30030 04C3178A
	v_max3_f32 v48, v140, v141, v48                            // 00000002BF00: D1D30030 04C31B8C
	v_max3_f32 v48, v142, v143, v48                            // 00000002BF08: D1D30030 04C31F8E
	ds_write_b32 v8, v48 offset:16896                          // 00000002BF10: D81A4200 00003008
	v_mul_f32_e32 v216, v50, v216                              // 00000002BF18: 0BB1B132
	v_mul_f32_e32 v217, v50, v217                              // 00000002BF1C: 0BB3B332
	v_mul_f32_e32 v218, v50, v218                              // 00000002BF20: 0BB5B532
	v_mul_f32_e32 v219, v50, v219                              // 00000002BF24: 0BB7B732
	v_mul_f32_e32 v220, v50, v220                              // 00000002BF28: 0BB9B932
	v_mul_f32_e32 v221, v50, v221                              // 00000002BF2C: 0BBBBB32
	v_mul_f32_e32 v222, v50, v222                              // 00000002BF30: 0BBDBD32
	v_mul_f32_e32 v223, v50, v223                              // 00000002BF34: 0BBFBF32
	s_waitcnt lgkmcnt(0)                                       // 00000002BF38: BF8CC07F
	s_barrier                                                  // 00000002BF3C: BF8A0000
	ds_read_b32 v64, v7 offset:16896                           // 00000002BF40: D86C4200 40000007
	ds_read_b32 v65, v7 offset:16960                           // 00000002BF48: D86C4240 41000007
	ds_read_b32 v66, v7 offset:17024                           // 00000002BF50: D86C4280 42000007
	ds_read_b32 v67, v7 offset:17088                           // 00000002BF58: D86C42C0 43000007
	ds_read_b32 v68, v7 offset:17152                           // 00000002BF60: D86C4300 44000007
	ds_read_b32 v69, v7 offset:17216                           // 00000002BF68: D86C4340 45000007
	ds_read_b32 v70, v7 offset:17280                           // 00000002BF70: D86C4380 46000007
	ds_read_b32 v71, v7 offset:17344                           // 00000002BF78: D86C43C0 47000007
	ds_read_b32 v72, v7 offset:17408                           // 00000002BF80: D86C4400 48000007
	ds_read_b32 v73, v7 offset:17472                           // 00000002BF88: D86C4440 49000007
	ds_read_b32 v74, v7 offset:17536                           // 00000002BF90: D86C4480 4A000007
	ds_read_b32 v75, v7 offset:17600                           // 00000002BF98: D86C44C0 4B000007
	ds_read_b32 v76, v7 offset:17664                           // 00000002BFA0: D86C4500 4C000007
	ds_read_b32 v77, v7 offset:17728                           // 00000002BFA8: D86C4540 4D000007
	ds_read_b32 v78, v7 offset:17792                           // 00000002BFB0: D86C4580 4E000007
	ds_read_b32 v79, v7 offset:17856                           // 00000002BFB8: D86C45C0 4F000007
	v_mul_f32_e32 v184, v45, v184                              // 00000002BFC0: 0B71712D
	v_mul_f32_e32 v185, v45, v185                              // 00000002BFC4: 0B73732D
	v_mul_f32_e32 v186, v45, v186                              // 00000002BFC8: 0B75752D
	v_mul_f32_e32 v187, v45, v187                              // 00000002BFCC: 0B77772D
	v_mul_f32_e32 v188, v45, v188                              // 00000002BFD0: 0B79792D
	v_mul_f32_e32 v189, v45, v189                              // 00000002BFD4: 0B7B7B2D
	v_mul_f32_e32 v190, v45, v190                              // 00000002BFD8: 0B7D7D2D
	v_mul_f32_e32 v191, v45, v191                              // 00000002BFDC: 0B7F7F2D
	s_waitcnt lgkmcnt(0)                                       // 00000002BFE0: BF8CC07F
	v_max3_f32 v48, v64, v65, v48                              // 00000002BFE4: D1D30030 04C28340
	v_max3_f32 v48, v66, v67, v48                              // 00000002BFEC: D1D30030 04C28742
	v_max3_f32 v48, v68, v69, v48                              // 00000002BFF4: D1D30030 04C28B44
	v_max3_f32 v48, v70, v71, v48                              // 00000002BFFC: D1D30030 04C28F46
	v_max3_f32 v48, v72, v73, v48                              // 00000002C004: D1D30030 04C29348
	v_max3_f32 v48, v74, v75, v48                              // 00000002C00C: D1D30030 04C2974A
	v_max3_f32 v48, v76, v77, v48                              // 00000002C014: D1D30030 04C29B4C
	v_max3_f32 v48, v78, v79, v48                              // 00000002C01C: D1D30030 04C29F4E
	v_mov_b32_e32 v64, 0xff800000                              // 00000002C024: 7E8002FF FF800000
	v_cmp_eq_u32_e64 s[40:41], v64, v12                        // 00000002C02C: D0CA0028 00021940
	s_nop 1                                                    // 00000002C034: BF800001
	v_max_f32_e32 v15, v48, v12                                // 00000002C038: 161E1930
	v_mul_f32_e32 v53, s64, v15                                // 00000002C03C: 0A6A1E40
	v_fma_f32 v128, v128, s64, -v53                            // 00000002C040: D1CB0080 84D48180
	v_fma_f32 v129, v129, s64, -v53                            // 00000002C048: D1CB0081 84D48181
	v_fma_f32 v130, v130, s64, -v53                            // 00000002C050: D1CB0082 84D48182
	v_fma_f32 v131, v131, s64, -v53                            // 00000002C058: D1CB0083 84D48183
	v_fma_f32 v132, v132, s64, -v53                            // 00000002C060: D1CB0084 84D48184
	v_fma_f32 v133, v133, s64, -v53                            // 00000002C068: D1CB0085 84D48185
	v_fma_f32 v134, v134, s64, -v53                            // 00000002C070: D1CB0086 84D48186
	v_fma_f32 v135, v135, s64, -v53                            // 00000002C078: D1CB0087 84D48187
	v_fma_f32 v136, v136, s64, -v53                            // 00000002C080: D1CB0088 84D48188
	v_fma_f32 v137, v137, s64, -v53                            // 00000002C088: D1CB0089 84D48189
	v_fma_f32 v138, v138, s64, -v53                            // 00000002C090: D1CB008A 84D4818A
	v_fma_f32 v139, v139, s64, -v53                            // 00000002C098: D1CB008B 84D4818B
	v_fma_f32 v140, v140, s64, -v53                            // 00000002C0A0: D1CB008C 84D4818C
	v_fma_f32 v141, v141, s64, -v53                            // 00000002C0A8: D1CB008D 84D4818D
	v_fma_f32 v142, v142, s64, -v53                            // 00000002C0B0: D1CB008E 84D4818E
	v_fma_f32 v143, v143, s64, -v53                            // 00000002C0B8: D1CB008F 84D4818F
	v_exp_f32_e32 v128, v128                                   // 00000002C0C0: 7F004180
	v_exp_f32_e32 v129, v129                                   // 00000002C0C4: 7F024181
	v_exp_f32_e32 v130, v130                                   // 00000002C0C8: 7F044182
	v_exp_f32_e32 v131, v131                                   // 00000002C0CC: 7F064183
	v_exp_f32_e32 v132, v132                                   // 00000002C0D0: 7F084184
	v_exp_f32_e32 v133, v133                                   // 00000002C0D4: 7F0A4185
	v_exp_f32_e32 v134, v134                                   // 00000002C0D8: 7F0C4186
	v_exp_f32_e32 v135, v135                                   // 00000002C0DC: 7F0E4187
	v_exp_f32_e32 v136, v136                                   // 00000002C0E0: 7F104188
	v_exp_f32_e32 v137, v137                                   // 00000002C0E4: 7F124189
	v_exp_f32_e32 v138, v138                                   // 00000002C0E8: 7F14418A
	v_exp_f32_e32 v139, v139                                   // 00000002C0EC: 7F16418B
	v_exp_f32_e32 v140, v140                                   // 00000002C0F0: 7F18418C
	v_exp_f32_e32 v141, v141                                   // 00000002C0F4: 7F1A418D
	v_exp_f32_e32 v142, v142                                   // 00000002C0F8: 7F1C418E
	v_exp_f32_e32 v143, v143                                   // 00000002C0FC: 7F1E418F
	v_mul_f32_dpp v240, v252, v128 quad_perm:[0,0,0,0] row_mask:0xf bank_mask:0xf// 00000002C100: 0BE100FA FF0000FC
	v_mul_f32_dpp v241, v252, v129 quad_perm:[1,1,1,1] row_mask:0xf bank_mask:0xf// 00000002C108: 0BE302FA FF0055FC
	v_mul_f32_dpp v242, v252, v130 quad_perm:[2,2,2,2] row_mask:0xf bank_mask:0xf// 00000002C110: 0BE504FA FF00AAFC
	v_mul_f32_dpp v243, v252, v131 quad_perm:[3,3,3,3] row_mask:0xf bank_mask:0xf// 00000002C118: 0BE706FA FF00FFFC
	v_mul_f32_dpp v244, v253, v132 quad_perm:[0,0,0,0] row_mask:0xf bank_mask:0xf// 00000002C120: 0BE908FA FF0000FD
	v_mul_f32_dpp v245, v253, v133 quad_perm:[1,1,1,1] row_mask:0xf bank_mask:0xf// 00000002C128: 0BEB0AFA FF0055FD
	v_mul_f32_dpp v246, v253, v134 quad_perm:[2,2,2,2] row_mask:0xf bank_mask:0xf// 00000002C130: 0BED0CFA FF00AAFD
	v_mul_f32_dpp v247, v253, v135 quad_perm:[3,3,3,3] row_mask:0xf bank_mask:0xf// 00000002C138: 0BEF0EFA FF00FFFD
	v_mul_f32_dpp v248, v254, v136 quad_perm:[0,0,0,0] row_mask:0xf bank_mask:0xf// 00000002C140: 0BF110FA FF0000FE
	v_mul_f32_dpp v249, v254, v137 quad_perm:[1,1,1,1] row_mask:0xf bank_mask:0xf// 00000002C148: 0BF312FA FF0055FE
	v_mul_f32_dpp v250, v254, v138 quad_perm:[2,2,2,2] row_mask:0xf bank_mask:0xf// 00000002C150: 0BF514FA FF00AAFE
	v_mul_f32_dpp v251, v254, v139 quad_perm:[3,3,3,3] row_mask:0xf bank_mask:0xf// 00000002C158: 0BF716FA FF00FFFE
	v_mul_f32_dpp v252, v255, v140 quad_perm:[0,0,0,0] row_mask:0xf bank_mask:0xf// 00000002C160: 0BF918FA FF0000FF
	v_mul_f32_dpp v253, v255, v141 quad_perm:[1,1,1,1] row_mask:0xf bank_mask:0xf// 00000002C168: 0BFB1AFA FF0055FF
	v_mul_f32_dpp v254, v255, v142 quad_perm:[2,2,2,2] row_mask:0xf bank_mask:0xf// 00000002C170: 0BFD1CFA FF00AAFF
	v_mul_f32_dpp v255, v255, v143 quad_perm:[3,3,3,3] row_mask:0xf bank_mask:0xf// 00000002C178: 0BFF1EFA FF00FFFF
	v_mov_b32_e32 v48, 0x358637bd                              // 00000002C180: 7E6002FF 358637BD
	v_max3_f32 v48, |v240|, |v241|, v48                        // 00000002C188: D1D30330 04C3E3F0
	v_max3_f32 v48, |v242|, |v243|, v48                        // 00000002C190: D1D30330 04C3E7F2
	v_max3_f32 v48, |v244|, |v245|, v48                        // 00000002C198: D1D30330 04C3EBF4
	v_max3_f32 v48, |v246|, |v247|, v48                        // 00000002C1A0: D1D30330 04C3EFF6
	v_max3_f32 v48, |v248|, |v249|, v48                        // 00000002C1A8: D1D30330 04C3F3F8
	v_max3_f32 v48, |v250|, |v251|, v48                        // 00000002C1B0: D1D30330 04C3F7FA
	v_max3_f32 v48, |v252|, |v253|, v48                        // 00000002C1B8: D1D30330 04C3FBFC
	v_max3_f32 v48, |v254|, |v255|, v48                        // 00000002C1C0: D1D30330 04C3FFFE
	ds_write_b32 v8, v48 offset:20992                          // 00000002C1C8: D81A5200 00003008
	v_sub_f32_e32 v50, v12, v15                                // 00000002C1D0: 04641F0C
	v_cndmask_b32_e64 v50, v50, 0, s[40:41]                    // 00000002C1D4: D1000032 00A10132
	v_mov_b32_e32 v12, v15                                     // 00000002C1DC: 7E18030F
	v_mul_f32_e32 v50, s64, v50                                // 00000002C1E0: 0A646440
	v_exp_f32_e32 v50, v50                                     // 00000002C1E4: 7E644132
	s_waitcnt lgkmcnt(0)                                       // 00000002C1E8: BF8CC07F
	s_barrier                                                  // 00000002C1EC: BF8A0000
	ds_read_b32 v64, v7 offset:20992                           // 00000002C1F0: D86C5200 40000007
	ds_read_b32 v65, v7 offset:21056                           // 00000002C1F8: D86C5240 41000007
	ds_read_b32 v66, v7 offset:21120                           // 00000002C200: D86C5280 42000007
	ds_read_b32 v67, v7 offset:21184                           // 00000002C208: D86C52C0 43000007
	ds_read_b32 v68, v7 offset:21248                           // 00000002C210: D86C5300 44000007
	ds_read_b32 v69, v7 offset:21312                           // 00000002C218: D86C5340 45000007
	ds_read_b32 v70, v7 offset:21376                           // 00000002C220: D86C5380 46000007
	ds_read_b32 v71, v7 offset:21440                           // 00000002C228: D86C53C0 47000007
	ds_read_b32 v72, v7 offset:21504                           // 00000002C230: D86C5400 48000007
	ds_read_b32 v73, v7 offset:21568                           // 00000002C238: D86C5440 49000007
	ds_read_b32 v74, v7 offset:21632                           // 00000002C240: D86C5480 4A000007
	ds_read_b32 v75, v7 offset:21696                           // 00000002C248: D86C54C0 4B000007
	ds_read_b32 v76, v7 offset:21760                           // 00000002C250: D86C5500 4C000007
	ds_read_b32 v77, v7 offset:21824                           // 00000002C258: D86C5540 4D000007
	ds_read_b32 v78, v7 offset:21888                           // 00000002C260: D86C5580 4E000007
	ds_read_b32 v79, v7 offset:21952                           // 00000002C268: D86C55C0 4F000007
	v_mul_f32_e32 v39, v50, v39                                // 00000002C270: 0A4E4F32
	v_mov_b32_e32 v15, v128                                    // 00000002C274: 7E1E0380
	v_add_f32_e32 v15, v129, v15                               // 00000002C278: 021E1F81
	v_add_f32_e32 v15, v130, v15                               // 00000002C27C: 021E1F82
	v_add_f32_e32 v15, v131, v15                               // 00000002C280: 021E1F83
	v_add_f32_e32 v15, v132, v15                               // 00000002C284: 021E1F84
	v_add_f32_e32 v15, v133, v15                               // 00000002C288: 021E1F85
	v_add_f32_e32 v15, v134, v15                               // 00000002C28C: 021E1F86
	v_add_f32_e32 v15, v135, v15                               // 00000002C290: 021E1F87
	v_add_f32_e32 v15, v136, v15                               // 00000002C294: 021E1F88
	v_add_f32_e32 v15, v137, v15                               // 00000002C298: 021E1F89
	v_add_f32_e32 v15, v138, v15                               // 00000002C29C: 021E1F8A
	v_add_f32_e32 v15, v139, v15                               // 00000002C2A0: 021E1F8B
	v_add_f32_e32 v15, v140, v15                               // 00000002C2A4: 021E1F8C
	v_add_f32_e32 v15, v141, v15                               // 00000002C2A8: 021E1F8D
	v_add_f32_e32 v15, v142, v15                               // 00000002C2AC: 021E1F8E
	v_add_f32_e32 v15, v143, v15                               // 00000002C2B0: 021E1F8F
	v_add_f32_e32 v39, v15, v39                                // 00000002C2B4: 024E4F0F
	s_waitcnt lgkmcnt(0)                                       // 00000002C2B8: BF8CC07F
	v_max3_f32 v48, |v64|, |v65|, v48                          // 00000002C2BC: D1D30330 04C28340
	v_max3_f32 v48, |v66|, |v67|, v48                          // 00000002C2C4: D1D30330 04C28742
	v_max3_f32 v48, |v68|, |v69|, v48                          // 00000002C2CC: D1D30330 04C28B44
	v_max3_f32 v48, |v70|, |v71|, v48                          // 00000002C2D4: D1D30330 04C28F46
	v_max3_f32 v48, |v72|, |v73|, v48                          // 00000002C2DC: D1D30330 04C29348
	v_max3_f32 v48, |v74|, |v75|, v48                          // 00000002C2E4: D1D30330 04C2974A
	v_max3_f32 v48, |v76|, |v77|, v48                          // 00000002C2EC: D1D30330 04C29B4C
	v_max3_f32 v48, |v78|, |v79|, v48                          // 00000002C2F4: D1D30330 04C29F4E
	s_nop 2                                                    // 00000002C2FC: BF800002
	v_rcp_f32_e32 v48, v48                                     // 00000002C300: 7E604530
	s_nop 1                                                    // 00000002C304: BF800001
	v_mul_f32_e32 v48, 0x43e00000, v48                         // 00000002C308: 0A6060FF 43E00000
	v_mul_f32_e32 v128, v48, v240                              // 00000002C310: 0B01E130
	v_mul_f32_e32 v129, v48, v241                              // 00000002C314: 0B03E330
	v_mul_f32_e32 v130, v48, v242                              // 00000002C318: 0B05E530
	v_mul_f32_e32 v131, v48, v243                              // 00000002C31C: 0B07E730
	v_mul_f32_e32 v132, v48, v244                              // 00000002C320: 0B09E930
	v_mul_f32_e32 v133, v48, v245                              // 00000002C324: 0B0BEB30
	v_mul_f32_e32 v134, v48, v246                              // 00000002C328: 0B0DED30
	v_mul_f32_e32 v135, v48, v247                              // 00000002C32C: 0B0FEF30
	v_mul_f32_e32 v136, v48, v248                              // 00000002C330: 0B11F130
	v_mul_f32_e32 v137, v48, v249                              // 00000002C334: 0B13F330
	v_mul_f32_e32 v138, v48, v250                              // 00000002C338: 0B15F530
	v_mul_f32_e32 v139, v48, v251                              // 00000002C33C: 0B17F730
	v_mul_f32_e32 v140, v48, v252                              // 00000002C340: 0B19F930
	v_mul_f32_e32 v141, v48, v253                              // 00000002C344: 0B1BFB30
	v_mul_f32_e32 v142, v48, v254                              // 00000002C348: 0B1DFD30
	v_mul_f32_e32 v143, v48, v255                              // 00000002C34C: 0B1FFF30
	v_cvt_pk_fp8_f32 v128, v128, v129                          // 00000002C350: D2A20080 00030380
	v_cvt_pk_fp8_f32 v128, v130, v131 op_sel:[0,0,1]           // 00000002C358: D2A24080 00030782
	v_cvt_pk_fp8_f32 v129, v132, v133                          // 00000002C360: D2A20081 00030B84
	v_cvt_pk_fp8_f32 v129, v134, v135 op_sel:[0,0,1]           // 00000002C368: D2A24081 00030F86
	v_cvt_pk_fp8_f32 v130, v136, v137                          // 00000002C370: D2A20082 00031388
	v_cvt_pk_fp8_f32 v130, v138, v139 op_sel:[0,0,1]           // 00000002C378: D2A24082 0003178A
	v_cvt_pk_fp8_f32 v131, v140, v141                          // 00000002C380: D2A20083 00031B8C
	v_cvt_pk_fp8_f32 v131, v142, v143 op_sel:[0,0,1]           // 00000002C388: D2A24083 00031F8E
	ds_write_b32 v10, v128 offset:29184                        // 00000002C390: D81A7200 0000800A
	ds_write_b32 v10, v129 offset:30208                        // 00000002C398: D81A7600 0000810A
	ds_write_b32 v10, v130 offset:31232                        // 00000002C3A0: D81A7A00 0000820A
	ds_write_b32 v10, v131 offset:32256                        // 00000002C3A8: D81A7E00 0000830A
	v_add_f32_e32 v216, v216, v184                             // 00000002C3B0: 03B171D8
	v_add_f32_e32 v217, v217, v185                             // 00000002C3B4: 03B373D9
	v_add_f32_e32 v218, v218, v186                             // 00000002C3B8: 03B575DA
	v_add_f32_e32 v219, v219, v187                             // 00000002C3BC: 03B777DB
	v_add_f32_e32 v220, v220, v188                             // 00000002C3C0: 03B979DC
	v_add_f32_e32 v221, v221, v189                             // 00000002C3C4: 03BB7BDD
	v_add_f32_e32 v222, v222, v190                             // 00000002C3C8: 03BD7DDE
	v_add_f32_e32 v223, v223, v191                             // 00000002C3CC: 03BF7FDF
	v_rcp_f32_e32 v45, v48                                     // 00000002C3D0: 7E5A4530
	s_waitcnt lgkmcnt(0)                                       // 00000002C3D4: BF8CC07F
	s_barrier                                                  // 00000002C3D8: BF8A0000
	ds_read_b64 v[128:129], v9 offset:29184                    // 00000002C3DC: D8EC7200 80000009
	ds_read_b64 v[130:131], v9 offset:29312                    // 00000002C3E4: D8EC7280 82000009
	ds_read_b64 v[132:133], v9 offset:30208                    // 00000002C3EC: D8EC7600 84000009
	ds_read_b64 v[134:135], v9 offset:30336                    // 00000002C3F4: D8EC7680 86000009
	ds_read_b64 v[136:137], v9 offset:31232                    // 00000002C3FC: D8EC7A00 88000009
	ds_read_b64 v[138:139], v9 offset:31360                    // 00000002C404: D8EC7A80 8A000009
	ds_read_b64 v[140:141], v9 offset:32256                    // 00000002C40C: D8EC7E00 8C000009
	ds_read_b64 v[142:143], v9 offset:32384                    // 00000002C414: D8EC7E80 8E000009
	v_mov_b32_dpp v64, v43 row_shr:4 row_mask:0xf bank_mask:0xf// 00000002C41C: 7E8002FA FF01142B
	v_mov_b32_dpp v65, v43 row_shl:4 row_mask:0xf bank_mask:0xf// 00000002C424: 7E8202FA FF01042B
	v_cndmask_b32_e64 v248, v43, v64, s[44:45]                 // 00000002C42C: D10000F8 00B2812B
	v_cndmask_b32_e64 v249, v65, v43, s[44:45]                 // 00000002C434: D10000F9 00B25741
	v_mov_b32_dpp v64, v248 row_shr:8 row_mask:0xf bank_mask:0xf// 00000002C43C: 7E8002FA FF0118F8
	v_mov_b32_dpp v65, v248 row_shl:8 row_mask:0xf bank_mask:0xf// 00000002C444: 7E8202FA FF0108F8
	v_mov_b32_dpp v66, v249 row_shr:8 row_mask:0xf bank_mask:0xf// 00000002C44C: 7E8402FA FF0118F9
	v_mov_b32_dpp v67, v249 row_shl:8 row_mask:0xf bank_mask:0xf// 00000002C454: 7E8602FA FF0108F9
	v_mov_b32_e32 v68, v248                                    // 00000002C45C: 7E8803F8
	v_mov_b32_e32 v69, v249                                    // 00000002C460: 7E8A03F9
	v_cndmask_b32_e64 v248, v68, v64, s[42:43]                 // 00000002C464: D10000F8 00AA8144
	v_cndmask_b32_e64 v250, v68, v65, s[78:79]                 // 00000002C46C: D10000FA 013A8344
	v_cndmask_b32_e64 v249, v69, v66, s[42:43]                 // 00000002C474: D10000F9 00AA8545
	v_cndmask_b32_e64 v251, v69, v67, s[78:79]                 // 00000002C47C: D10000FB 013A8745
	v_mov_b32_dpp v64, v58 row_shr:4 row_mask:0xf bank_mask:0xf// 00000002C484: 7E8002FA FF01143A
	v_mov_b32_dpp v65, v58 row_shl:4 row_mask:0xf bank_mask:0xf// 00000002C48C: 7E8202FA FF01043A
	v_cndmask_b32_e64 v252, v58, v64, s[44:45]                 // 00000002C494: D10000FC 00B2813A
	v_cndmask_b32_e64 v253, v65, v58, s[44:45]                 // 00000002C49C: D10000FD 00B27541
	v_mov_b32_dpp v64, v252 row_shr:8 row_mask:0xf bank_mask:0xf// 00000002C4A4: 7E8002FA FF0118FC
	v_mov_b32_dpp v65, v252 row_shl:8 row_mask:0xf bank_mask:0xf// 00000002C4AC: 7E8202FA FF0108FC
	v_mov_b32_dpp v66, v253 row_shr:8 row_mask:0xf bank_mask:0xf// 00000002C4B4: 7E8402FA FF0118FD
	v_mov_b32_dpp v67, v253 row_shl:8 row_mask:0xf bank_mask:0xf// 00000002C4BC: 7E8602FA FF0108FD
	v_mov_b32_e32 v68, v252                                    // 00000002C4C4: 7E8803FC
	v_mov_b32_e32 v69, v253                                    // 00000002C4C8: 7E8A03FD
	v_cndmask_b32_e64 v252, v68, v64, s[42:43]                 // 00000002C4CC: D10000FC 00AA8144
	v_cndmask_b32_e64 v254, v68, v65, s[78:79]                 // 00000002C4D4: D10000FE 013A8344
	v_cndmask_b32_e64 v253, v69, v66, s[42:43]                 // 00000002C4DC: D10000FD 00AA8545
	v_cndmask_b32_e64 v255, v69, v67, s[78:79]                 // 00000002C4E4: D10000FF 013A8745
	v_mul_f32_e32 v144, v20, v144                              // 00000002C4EC: 0B212114
	v_mul_f32_e32 v145, v20, v145                              // 00000002C4F0: 0B232314
	v_mul_f32_e32 v146, v20, v146                              // 00000002C4F4: 0B252514
	v_mul_f32_e32 v147, v20, v147                              // 00000002C4F8: 0B272714
	v_mul_f32_e32 v148, v20, v148                              // 00000002C4FC: 0B292914
	v_mul_f32_e32 v149, v20, v149                              // 00000002C500: 0B2B2B14
	v_mul_f32_e32 v150, v20, v150                              // 00000002C504: 0B2D2D14
	v_mul_f32_e32 v151, v20, v151                              // 00000002C508: 0B2F2F14
	v_mul_f32_e32 v152, v20, v152                              // 00000002C50C: 0B313114
	v_mul_f32_e32 v153, v20, v153                              // 00000002C510: 0B333314
	v_mul_f32_e32 v154, v20, v154                              // 00000002C514: 0B353514
	v_mul_f32_e32 v155, v20, v155                              // 00000002C518: 0B373714
	v_mul_f32_e32 v156, v20, v156                              // 00000002C51C: 0B393914
	v_mul_f32_e32 v157, v20, v157                              // 00000002C520: 0B3B3B14
	v_mul_f32_e32 v158, v20, v158                              // 00000002C524: 0B3D3D14
	v_mul_f32_e32 v159, v20, v159                              // 00000002C528: 0B3F3F14
	v_mul_f32_dpp v144, v248, v144 quad_perm:[0,0,0,0] row_mask:0xf bank_mask:0xf// 00000002C52C: 0B2120FA FF0000F8
	v_mul_f32_dpp v145, v248, v145 quad_perm:[1,1,1,1] row_mask:0xf bank_mask:0xf// 00000002C534: 0B2322FA FF0055F8
	v_mul_f32_dpp v146, v248, v146 quad_perm:[2,2,2,2] row_mask:0xf bank_mask:0xf// 00000002C53C: 0B2524FA FF00AAF8
	v_mul_f32_dpp v147, v248, v147 quad_perm:[3,3,3,3] row_mask:0xf bank_mask:0xf// 00000002C544: 0B2726FA FF00FFF8
	v_mul_f32_dpp v148, v249, v148 quad_perm:[0,0,0,0] row_mask:0xf bank_mask:0xf// 00000002C54C: 0B2928FA FF0000F9
	v_mul_f32_dpp v149, v249, v149 quad_perm:[1,1,1,1] row_mask:0xf bank_mask:0xf// 00000002C554: 0B2B2AFA FF0055F9
	v_mul_f32_dpp v150, v249, v150 quad_perm:[2,2,2,2] row_mask:0xf bank_mask:0xf// 00000002C55C: 0B2D2CFA FF00AAF9
	v_mul_f32_dpp v151, v249, v151 quad_perm:[3,3,3,3] row_mask:0xf bank_mask:0xf// 00000002C564: 0B2F2EFA FF00FFF9
	v_mul_f32_dpp v152, v250, v152 quad_perm:[0,0,0,0] row_mask:0xf bank_mask:0xf// 00000002C56C: 0B3130FA FF0000FA
	v_mul_f32_dpp v153, v250, v153 quad_perm:[1,1,1,1] row_mask:0xf bank_mask:0xf// 00000002C574: 0B3332FA FF0055FA
	v_mul_f32_dpp v154, v250, v154 quad_perm:[2,2,2,2] row_mask:0xf bank_mask:0xf// 00000002C57C: 0B3534FA FF00AAFA
	v_mul_f32_dpp v155, v250, v155 quad_perm:[3,3,3,3] row_mask:0xf bank_mask:0xf// 00000002C584: 0B3736FA FF00FFFA
	v_mul_f32_dpp v156, v251, v156 quad_perm:[0,0,0,0] row_mask:0xf bank_mask:0xf// 00000002C58C: 0B3938FA FF0000FB
	v_mul_f32_dpp v157, v251, v157 quad_perm:[1,1,1,1] row_mask:0xf bank_mask:0xf// 00000002C594: 0B3B3AFA FF0055FB
	v_mul_f32_dpp v158, v251, v158 quad_perm:[2,2,2,2] row_mask:0xf bank_mask:0xf// 00000002C59C: 0B3D3CFA FF00AAFB
	v_mul_f32_dpp v159, v251, v159 quad_perm:[3,3,3,3] row_mask:0xf bank_mask:0xf// 00000002C5A4: 0B3F3EFA FF00FFFB
	s_cmp_le_i32 s90, s89                                      // 00000002C5AC: BF05595A
	s_cbranch_scc1 label_A95E                                  // 00000002C5B0: BF850071
	v_mov_b32_e32 v66, 0xff800000                              // 00000002C5B4: 7E8402FF FF800000
	s_mov_b32 s60, s90                                         // 00000002C5BC: BEBC005A
	s_add_u32 s61, s89, 0xff                                   // 00000002C5C0: 803DFF59 000000FF
	v_mov_b32_e32 v64, s61                                     // 00000002C5C8: 7E80023D
	v_lshrrev_b32_e32 v240, 4, v0                              // 00000002C5CC: 21E00084
	v_mul_i32_i24_e32 v240, 4, v240                            // 00000002C5D0: 0DE1E084
	v_add_u32_e32 v240, s60, v240                              // 00000002C5D4: 69E1E03C
	s_mov_b32 s61, 2                                           // 00000002C5D8: BEBD0082
	s_mul_i32 s60, 16, s7                                      // 00000002C5DC: 923C0790
	v_sub_u32_e64 v240, v240, s61                              // 00000002C5E0: D13500F0 00007BF0
	v_add_u32_e32 v240, s60, v240                              // 00000002C5E8: 69E1E03C
	v_add_u32_e32 v241, 1, v240                                // 00000002C5EC: 69E3E081
	v_add_u32_e32 v242, 2, v240                                // 00000002C5F0: 69E5E082
	v_add_u32_e32 v243, 3, v240                                // 00000002C5F4: 69E7E083
	v_cmp_le_u32_e64 s[40:41], v240, v64                       // 00000002C5F8: D0CB0028 000281F0
	v_add_u32_e32 v240, 64, v240                               // 00000002C600: 69E1E0C0
	s_nop 0                                                    // 00000002C604: BF800000
	v_cndmask_b32_e64 v144, v66, v144, s[40:41]                // 00000002C608: D1000090 00A32142
	v_cmp_le_u32_e64 s[40:41], v241, v64                       // 00000002C610: D0CB0028 000281F1
	v_add_u32_e32 v241, 64, v241                               // 00000002C618: 69E3E2C0
	s_nop 0                                                    // 00000002C61C: BF800000
	v_cndmask_b32_e64 v145, v66, v145, s[40:41]                // 00000002C620: D1000091 00A32342
	v_cmp_le_u32_e64 s[40:41], v242, v64                       // 00000002C628: D0CB0028 000281F2
	v_add_u32_e32 v242, 64, v242                               // 00000002C630: 69E5E4C0
	s_nop 0                                                    // 00000002C634: BF800000
	v_cndmask_b32_e64 v146, v66, v146, s[40:41]                // 00000002C638: D1000092 00A32542
	v_cmp_le_u32_e64 s[40:41], v243, v64                       // 00000002C640: D0CB0028 000281F3
	v_add_u32_e32 v243, 64, v243                               // 00000002C648: 69E7E6C0
	s_nop 0                                                    // 00000002C64C: BF800000
	v_cndmask_b32_e64 v147, v66, v147, s[40:41]                // 00000002C650: D1000093 00A32742
	v_cmp_le_u32_e64 s[40:41], v240, v64                       // 00000002C658: D0CB0028 000281F0
	v_add_u32_e32 v240, 64, v240                               // 00000002C660: 69E1E0C0
	s_nop 0                                                    // 00000002C664: BF800000
	v_cndmask_b32_e64 v148, v66, v148, s[40:41]                // 00000002C668: D1000094 00A32942
	v_cmp_le_u32_e64 s[40:41], v241, v64                       // 00000002C670: D0CB0028 000281F1
	v_add_u32_e32 v241, 64, v241                               // 00000002C678: 69E3E2C0
	s_nop 0                                                    // 00000002C67C: BF800000
	v_cndmask_b32_e64 v149, v66, v149, s[40:41]                // 00000002C680: D1000095 00A32B42
	v_cmp_le_u32_e64 s[40:41], v242, v64                       // 00000002C688: D0CB0028 000281F2
	v_add_u32_e32 v242, 64, v242                               // 00000002C690: 69E5E4C0
	s_nop 0                                                    // 00000002C694: BF800000
	v_cndmask_b32_e64 v150, v66, v150, s[40:41]                // 00000002C698: D1000096 00A32D42
	v_cmp_le_u32_e64 s[40:41], v243, v64                       // 00000002C6A0: D0CB0028 000281F3
	v_add_u32_e32 v243, 64, v243                               // 00000002C6A8: 69E7E6C0
	s_nop 0                                                    // 00000002C6AC: BF800000
	v_cndmask_b32_e64 v151, v66, v151, s[40:41]                // 00000002C6B0: D1000097 00A32F42
	v_cmp_le_u32_e64 s[40:41], v240, v64                       // 00000002C6B8: D0CB0028 000281F0
	v_add_u32_e32 v240, 64, v240                               // 00000002C6C0: 69E1E0C0
	s_nop 0                                                    // 00000002C6C4: BF800000
	v_cndmask_b32_e64 v152, v66, v152, s[40:41]                // 00000002C6C8: D1000098 00A33142
	v_cmp_le_u32_e64 s[40:41], v241, v64                       // 00000002C6D0: D0CB0028 000281F1
	v_add_u32_e32 v241, 64, v241                               // 00000002C6D8: 69E3E2C0
	s_nop 0                                                    // 00000002C6DC: BF800000
	v_cndmask_b32_e64 v153, v66, v153, s[40:41]                // 00000002C6E0: D1000099 00A33342
	v_cmp_le_u32_e64 s[40:41], v242, v64                       // 00000002C6E8: D0CB0028 000281F2
	v_add_u32_e32 v242, 64, v242                               // 00000002C6F0: 69E5E4C0
	s_nop 0                                                    // 00000002C6F4: BF800000
	v_cndmask_b32_e64 v154, v66, v154, s[40:41]                // 00000002C6F8: D100009A 00A33542
	v_cmp_le_u32_e64 s[40:41], v243, v64                       // 00000002C700: D0CB0028 000281F3
	v_add_u32_e32 v243, 64, v243                               // 00000002C708: 69E7E6C0
	s_nop 0                                                    // 00000002C70C: BF800000
	v_cndmask_b32_e64 v155, v66, v155, s[40:41]                // 00000002C710: D100009B 00A33742
	v_cmp_le_u32_e64 s[40:41], v240, v64                       // 00000002C718: D0CB0028 000281F0
	v_add_u32_e32 v240, 64, v240                               // 00000002C720: 69E1E0C0
	s_nop 0                                                    // 00000002C724: BF800000
	v_cndmask_b32_e64 v156, v66, v156, s[40:41]                // 00000002C728: D100009C 00A33942
	v_cmp_le_u32_e64 s[40:41], v241, v64                       // 00000002C730: D0CB0028 000281F1
	v_add_u32_e32 v241, 64, v241                               // 00000002C738: 69E3E2C0
	s_nop 0                                                    // 00000002C73C: BF800000
	v_cndmask_b32_e64 v157, v66, v157, s[40:41]                // 00000002C740: D100009D 00A33B42
	v_cmp_le_u32_e64 s[40:41], v242, v64                       // 00000002C748: D0CB0028 000281F2
	v_add_u32_e32 v242, 64, v242                               // 00000002C750: 69E5E4C0
	s_nop 0                                                    // 00000002C754: BF800000
	v_cndmask_b32_e64 v158, v66, v158, s[40:41]                // 00000002C758: D100009E 00A33D42
	v_cmp_le_u32_e64 s[40:41], v243, v64                       // 00000002C760: D0CB0028 000281F3
	v_add_u32_e32 v243, 64, v243                               // 00000002C768: 69E7E6C0
	s_nop 0                                                    // 00000002C76C: BF800000
	v_cndmask_b32_e64 v159, v66, v159, s[40:41]                // 00000002C770: D100009F 00A33F42

000000000002c778 <label_A95E>:
	s_and_b32 s60, s72, 0xff                                   // 00000002C778: 863CFF48 000000FF
	v_mov_b32_e32 v65, s60                                     // 00000002C780: 7E82023C
	v_lshrrev_b32_e32 v240, 4, v0                              // 00000002C784: 21E00084
	v_mul_i32_i24_e32 v240, 4, v240                            // 00000002C788: 0DE1E084
	s_mul_i32 s60, s7, 16                                      // 00000002C78C: 923C9007
	v_add_u32_e32 v240, s60, v240                              // 00000002C790: 69E1E03C
	v_add_u32_e32 v241, 1, v240                                // 00000002C794: 69E3E081
	v_add_u32_e32 v242, 2, v240                                // 00000002C798: 69E5E082
	v_add_u32_e32 v243, 3, v240                                // 00000002C79C: 69E7E083
	v_mov_b32_e32 v64, 0xff800000                              // 00000002C7A0: 7E8002FF FF800000
	v_cmp_lt_u32_e64 s[40:41], v240, v65                       // 00000002C7A8: D0C90028 000283F0
	v_add_u32_e32 v240, 64, v240                               // 00000002C7B0: 69E1E0C0
	s_nop 0                                                    // 00000002C7B4: BF800000
	v_cndmask_b32_e64 v144, v64, v144, s[40:41]                // 00000002C7B8: D1000090 00A32140
	v_cmp_lt_u32_e64 s[40:41], v241, v65                       // 00000002C7C0: D0C90028 000283F1
	v_add_u32_e32 v241, 64, v241                               // 00000002C7C8: 69E3E2C0
	s_nop 0                                                    // 00000002C7CC: BF800000
	v_cndmask_b32_e64 v145, v64, v145, s[40:41]                // 00000002C7D0: D1000091 00A32340
	v_cmp_lt_u32_e64 s[40:41], v242, v65                       // 00000002C7D8: D0C90028 000283F2
	v_add_u32_e32 v242, 64, v242                               // 00000002C7E0: 69E5E4C0
	s_nop 0                                                    // 00000002C7E4: BF800000
	v_cndmask_b32_e64 v146, v64, v146, s[40:41]                // 00000002C7E8: D1000092 00A32540
	v_cmp_lt_u32_e64 s[40:41], v243, v65                       // 00000002C7F0: D0C90028 000283F3
	v_add_u32_e32 v243, 64, v243                               // 00000002C7F8: 69E7E6C0
	s_nop 0                                                    // 00000002C7FC: BF800000
	v_cndmask_b32_e64 v147, v64, v147, s[40:41]                // 00000002C800: D1000093 00A32740
	v_cmp_lt_u32_e64 s[40:41], v240, v65                       // 00000002C808: D0C90028 000283F0
	v_add_u32_e32 v240, 64, v240                               // 00000002C810: 69E1E0C0
	s_nop 0                                                    // 00000002C814: BF800000
	v_cndmask_b32_e64 v148, v64, v148, s[40:41]                // 00000002C818: D1000094 00A32940
	v_cmp_lt_u32_e64 s[40:41], v241, v65                       // 00000002C820: D0C90028 000283F1
	v_add_u32_e32 v241, 64, v241                               // 00000002C828: 69E3E2C0
	s_nop 0                                                    // 00000002C82C: BF800000
	v_cndmask_b32_e64 v149, v64, v149, s[40:41]                // 00000002C830: D1000095 00A32B40
	v_cmp_lt_u32_e64 s[40:41], v242, v65                       // 00000002C838: D0C90028 000283F2
	v_add_u32_e32 v242, 64, v242                               // 00000002C840: 69E5E4C0
	s_nop 0                                                    // 00000002C844: BF800000
	v_cndmask_b32_e64 v150, v64, v150, s[40:41]                // 00000002C848: D1000096 00A32D40
	v_cmp_lt_u32_e64 s[40:41], v243, v65                       // 00000002C850: D0C90028 000283F3
	v_add_u32_e32 v243, 64, v243                               // 00000002C858: 69E7E6C0
	s_nop 0                                                    // 00000002C85C: BF800000
	v_cndmask_b32_e64 v151, v64, v151, s[40:41]                // 00000002C860: D1000097 00A32F40
	v_cmp_lt_u32_e64 s[40:41], v240, v65                       // 00000002C868: D0C90028 000283F0
	v_add_u32_e32 v240, 64, v240                               // 00000002C870: 69E1E0C0
	s_nop 0                                                    // 00000002C874: BF800000
	v_cndmask_b32_e64 v152, v64, v152, s[40:41]                // 00000002C878: D1000098 00A33140
	v_cmp_lt_u32_e64 s[40:41], v241, v65                       // 00000002C880: D0C90028 000283F1
	v_add_u32_e32 v241, 64, v241                               // 00000002C888: 69E3E2C0
	s_nop 0                                                    // 00000002C88C: BF800000
	v_cndmask_b32_e64 v153, v64, v153, s[40:41]                // 00000002C890: D1000099 00A33340
	v_cmp_lt_u32_e64 s[40:41], v242, v65                       // 00000002C898: D0C90028 000283F2
	v_add_u32_e32 v242, 64, v242                               // 00000002C8A0: 69E5E4C0
	s_nop 0                                                    // 00000002C8A4: BF800000
	v_cndmask_b32_e64 v154, v64, v154, s[40:41]                // 00000002C8A8: D100009A 00A33540
	v_cmp_lt_u32_e64 s[40:41], v243, v65                       // 00000002C8B0: D0C90028 000283F3
	v_add_u32_e32 v243, 64, v243                               // 00000002C8B8: 69E7E6C0
	s_nop 0                                                    // 00000002C8BC: BF800000
	v_cndmask_b32_e64 v155, v64, v155, s[40:41]                // 00000002C8C0: D100009B 00A33740
	v_cmp_lt_u32_e64 s[40:41], v240, v65                       // 00000002C8C8: D0C90028 000283F0
	v_add_u32_e32 v240, 64, v240                               // 00000002C8D0: 69E1E0C0
	s_nop 0                                                    // 00000002C8D4: BF800000
	v_cndmask_b32_e64 v156, v64, v156, s[40:41]                // 00000002C8D8: D100009C 00A33940
	v_cmp_lt_u32_e64 s[40:41], v241, v65                       // 00000002C8E0: D0C90028 000283F1
	v_add_u32_e32 v241, 64, v241                               // 00000002C8E8: 69E3E2C0
	s_nop 0                                                    // 00000002C8EC: BF800000
	v_cndmask_b32_e64 v157, v64, v157, s[40:41]                // 00000002C8F0: D100009D 00A33B40
	v_cmp_lt_u32_e64 s[40:41], v242, v65                       // 00000002C8F8: D0C90028 000283F2
	v_add_u32_e32 v242, 64, v242                               // 00000002C900: 69E5E4C0
	s_nop 0                                                    // 00000002C904: BF800000
	v_cndmask_b32_e64 v158, v64, v158, s[40:41]                // 00000002C908: D100009E 00A33D40
	v_cmp_lt_u32_e64 s[40:41], v243, v65                       // 00000002C910: D0C90028 000283F3
	v_add_u32_e32 v243, 64, v243                               // 00000002C918: 69E7E6C0
	s_nop 0                                                    // 00000002C91C: BF800000
	v_cndmask_b32_e64 v159, v64, v159, s[40:41]                // 00000002C920: D100009F 00A33F40
	v_mov_b32_e32 v48, v144                                    // 00000002C928: 7E600390
	v_max3_f32 v48, v144, v145, v48                            // 00000002C92C: D1D30030 04C32390
	v_max3_f32 v48, v146, v147, v48                            // 00000002C934: D1D30030 04C32792
	v_max3_f32 v48, v148, v149, v48                            // 00000002C93C: D1D30030 04C32B94
	v_max3_f32 v48, v150, v151, v48                            // 00000002C944: D1D30030 04C32F96
	v_max3_f32 v48, v152, v153, v48                            // 00000002C94C: D1D30030 04C33398
	v_max3_f32 v48, v154, v155, v48                            // 00000002C954: D1D30030 04C3379A
	v_max3_f32 v48, v156, v157, v48                            // 00000002C95C: D1D30030 04C33B9C
	v_max3_f32 v48, v158, v159, v48                            // 00000002C964: D1D30030 04C33F9E
	ds_write_b32 v8, v48 offset:16896                          // 00000002C96C: D81A4200 00003008
	v_mul_f32_e32 v224, v51, v224                              // 00000002C974: 0BC1C133
	v_mul_f32_e32 v225, v51, v225                              // 00000002C978: 0BC3C333
	v_mul_f32_e32 v226, v51, v226                              // 00000002C97C: 0BC5C533
	v_mul_f32_e32 v227, v51, v227                              // 00000002C980: 0BC7C733
	v_mul_f32_e32 v228, v51, v228                              // 00000002C984: 0BC9C933
	v_mul_f32_e32 v229, v51, v229                              // 00000002C988: 0BCBCB33
	v_mul_f32_e32 v230, v51, v230                              // 00000002C98C: 0BCDCD33
	v_mul_f32_e32 v231, v51, v231                              // 00000002C990: 0BCFCF33
	s_waitcnt lgkmcnt(0)                                       // 00000002C994: BF8CC07F
	s_barrier                                                  // 00000002C998: BF8A0000
	ds_read_b32 v64, v7 offset:16896                           // 00000002C99C: D86C4200 40000007
	ds_read_b32 v65, v7 offset:16960                           // 00000002C9A4: D86C4240 41000007
	ds_read_b32 v66, v7 offset:17024                           // 00000002C9AC: D86C4280 42000007
	ds_read_b32 v67, v7 offset:17088                           // 00000002C9B4: D86C42C0 43000007
	ds_read_b32 v68, v7 offset:17152                           // 00000002C9BC: D86C4300 44000007
	ds_read_b32 v69, v7 offset:17216                           // 00000002C9C4: D86C4340 45000007
	ds_read_b32 v70, v7 offset:17280                           // 00000002C9CC: D86C4380 46000007
	ds_read_b32 v71, v7 offset:17344                           // 00000002C9D4: D86C43C0 47000007
	ds_read_b32 v72, v7 offset:17408                           // 00000002C9DC: D86C4400 48000007
	ds_read_b32 v73, v7 offset:17472                           // 00000002C9E4: D86C4440 49000007
	ds_read_b32 v74, v7 offset:17536                           // 00000002C9EC: D86C4480 4A000007
	ds_read_b32 v75, v7 offset:17600                           // 00000002C9F4: D86C44C0 4B000007
	ds_read_b32 v76, v7 offset:17664                           // 00000002C9FC: D86C4500 4C000007
	ds_read_b32 v77, v7 offset:17728                           // 00000002CA04: D86C4540 4D000007
	ds_read_b32 v78, v7 offset:17792                           // 00000002CA0C: D86C4580 4E000007
	ds_read_b32 v79, v7 offset:17856                           // 00000002CA14: D86C45C0 4F000007
	v_mul_f32_e32 v192, v46, v192                              // 00000002CA1C: 0B81812E
	v_mul_f32_e32 v193, v46, v193                              // 00000002CA20: 0B83832E
	v_mul_f32_e32 v194, v46, v194                              // 00000002CA24: 0B85852E
	v_mul_f32_e32 v195, v46, v195                              // 00000002CA28: 0B87872E
	v_mul_f32_e32 v196, v46, v196                              // 00000002CA2C: 0B89892E
	v_mul_f32_e32 v197, v46, v197                              // 00000002CA30: 0B8B8B2E
	v_mul_f32_e32 v198, v46, v198                              // 00000002CA34: 0B8D8D2E
	v_mul_f32_e32 v199, v46, v199                              // 00000002CA38: 0B8F8F2E
	s_waitcnt lgkmcnt(0)                                       // 00000002CA3C: BF8CC07F
	v_max3_f32 v48, v64, v65, v48                              // 00000002CA40: D1D30030 04C28340
	v_max3_f32 v48, v66, v67, v48                              // 00000002CA48: D1D30030 04C28742
	v_max3_f32 v48, v68, v69, v48                              // 00000002CA50: D1D30030 04C28B44
	v_max3_f32 v48, v70, v71, v48                              // 00000002CA58: D1D30030 04C28F46
	v_max3_f32 v48, v72, v73, v48                              // 00000002CA60: D1D30030 04C29348
	v_max3_f32 v48, v74, v75, v48                              // 00000002CA68: D1D30030 04C2974A
	v_max3_f32 v48, v76, v77, v48                              // 00000002CA70: D1D30030 04C29B4C
	v_max3_f32 v48, v78, v79, v48                              // 00000002CA78: D1D30030 04C29F4E
	v_mov_b32_e32 v64, 0xff800000                              // 00000002CA80: 7E8002FF FF800000
	v_cmp_eq_u32_e64 s[40:41], v64, v13                        // 00000002CA88: D0CA0028 00021B40
	s_nop 1                                                    // 00000002CA90: BF800001
	v_max_f32_e32 v15, v48, v13                                // 00000002CA94: 161E1B30
	v_mul_f32_e32 v53, s64, v15                                // 00000002CA98: 0A6A1E40
	v_fma_f32 v144, v144, s64, -v53                            // 00000002CA9C: D1CB0090 84D48190
	v_fma_f32 v145, v145, s64, -v53                            // 00000002CAA4: D1CB0091 84D48191
	v_fma_f32 v146, v146, s64, -v53                            // 00000002CAAC: D1CB0092 84D48192
	v_fma_f32 v147, v147, s64, -v53                            // 00000002CAB4: D1CB0093 84D48193
	v_fma_f32 v148, v148, s64, -v53                            // 00000002CABC: D1CB0094 84D48194
	v_fma_f32 v149, v149, s64, -v53                            // 00000002CAC4: D1CB0095 84D48195
	v_fma_f32 v150, v150, s64, -v53                            // 00000002CACC: D1CB0096 84D48196
	v_fma_f32 v151, v151, s64, -v53                            // 00000002CAD4: D1CB0097 84D48197
	v_fma_f32 v152, v152, s64, -v53                            // 00000002CADC: D1CB0098 84D48198
	v_fma_f32 v153, v153, s64, -v53                            // 00000002CAE4: D1CB0099 84D48199
	v_fma_f32 v154, v154, s64, -v53                            // 00000002CAEC: D1CB009A 84D4819A
	v_fma_f32 v155, v155, s64, -v53                            // 00000002CAF4: D1CB009B 84D4819B
	v_fma_f32 v156, v156, s64, -v53                            // 00000002CAFC: D1CB009C 84D4819C
	v_fma_f32 v157, v157, s64, -v53                            // 00000002CB04: D1CB009D 84D4819D
	v_fma_f32 v158, v158, s64, -v53                            // 00000002CB0C: D1CB009E 84D4819E
	v_fma_f32 v159, v159, s64, -v53                            // 00000002CB14: D1CB009F 84D4819F
	v_exp_f32_e32 v144, v144                                   // 00000002CB1C: 7F204190
	v_exp_f32_e32 v145, v145                                   // 00000002CB20: 7F224191
	v_exp_f32_e32 v146, v146                                   // 00000002CB24: 7F244192
	v_exp_f32_e32 v147, v147                                   // 00000002CB28: 7F264193
	v_exp_f32_e32 v148, v148                                   // 00000002CB2C: 7F284194
	v_exp_f32_e32 v149, v149                                   // 00000002CB30: 7F2A4195
	v_exp_f32_e32 v150, v150                                   // 00000002CB34: 7F2C4196
	v_exp_f32_e32 v151, v151                                   // 00000002CB38: 7F2E4197
	v_exp_f32_e32 v152, v152                                   // 00000002CB3C: 7F304198
	v_exp_f32_e32 v153, v153                                   // 00000002CB40: 7F324199
	v_exp_f32_e32 v154, v154                                   // 00000002CB44: 7F34419A
	v_exp_f32_e32 v155, v155                                   // 00000002CB48: 7F36419B
	v_exp_f32_e32 v156, v156                                   // 00000002CB4C: 7F38419C
	v_exp_f32_e32 v157, v157                                   // 00000002CB50: 7F3A419D
	v_exp_f32_e32 v158, v158                                   // 00000002CB54: 7F3C419E
	v_exp_f32_e32 v159, v159                                   // 00000002CB58: 7F3E419F
	v_mul_f32_dpp v240, v252, v144 quad_perm:[0,0,0,0] row_mask:0xf bank_mask:0xf// 00000002CB5C: 0BE120FA FF0000FC
	v_mul_f32_dpp v241, v252, v145 quad_perm:[1,1,1,1] row_mask:0xf bank_mask:0xf// 00000002CB64: 0BE322FA FF0055FC
	v_mul_f32_dpp v242, v252, v146 quad_perm:[2,2,2,2] row_mask:0xf bank_mask:0xf// 00000002CB6C: 0BE524FA FF00AAFC
	v_mul_f32_dpp v243, v252, v147 quad_perm:[3,3,3,3] row_mask:0xf bank_mask:0xf// 00000002CB74: 0BE726FA FF00FFFC
	v_mul_f32_dpp v244, v253, v148 quad_perm:[0,0,0,0] row_mask:0xf bank_mask:0xf// 00000002CB7C: 0BE928FA FF0000FD
	v_mul_f32_dpp v245, v253, v149 quad_perm:[1,1,1,1] row_mask:0xf bank_mask:0xf// 00000002CB84: 0BEB2AFA FF0055FD
	v_mul_f32_dpp v246, v253, v150 quad_perm:[2,2,2,2] row_mask:0xf bank_mask:0xf// 00000002CB8C: 0BED2CFA FF00AAFD
	v_mul_f32_dpp v247, v253, v151 quad_perm:[3,3,3,3] row_mask:0xf bank_mask:0xf// 00000002CB94: 0BEF2EFA FF00FFFD
	v_mul_f32_dpp v248, v254, v152 quad_perm:[0,0,0,0] row_mask:0xf bank_mask:0xf// 00000002CB9C: 0BF130FA FF0000FE
	v_mul_f32_dpp v249, v254, v153 quad_perm:[1,1,1,1] row_mask:0xf bank_mask:0xf// 00000002CBA4: 0BF332FA FF0055FE
	v_mul_f32_dpp v250, v254, v154 quad_perm:[2,2,2,2] row_mask:0xf bank_mask:0xf// 00000002CBAC: 0BF534FA FF00AAFE
	v_mul_f32_dpp v251, v254, v155 quad_perm:[3,3,3,3] row_mask:0xf bank_mask:0xf// 00000002CBB4: 0BF736FA FF00FFFE
	v_mul_f32_dpp v252, v255, v156 quad_perm:[0,0,0,0] row_mask:0xf bank_mask:0xf// 00000002CBBC: 0BF938FA FF0000FF
	v_mul_f32_dpp v253, v255, v157 quad_perm:[1,1,1,1] row_mask:0xf bank_mask:0xf// 00000002CBC4: 0BFB3AFA FF0055FF
	v_mul_f32_dpp v254, v255, v158 quad_perm:[2,2,2,2] row_mask:0xf bank_mask:0xf// 00000002CBCC: 0BFD3CFA FF00AAFF
	v_mul_f32_dpp v255, v255, v159 quad_perm:[3,3,3,3] row_mask:0xf bank_mask:0xf// 00000002CBD4: 0BFF3EFA FF00FFFF
	v_mov_b32_e32 v48, 0x358637bd                              // 00000002CBDC: 7E6002FF 358637BD
	v_max3_f32 v48, |v240|, |v241|, v48                        // 00000002CBE4: D1D30330 04C3E3F0
	v_max3_f32 v48, |v242|, |v243|, v48                        // 00000002CBEC: D1D30330 04C3E7F2
	v_max3_f32 v48, |v244|, |v245|, v48                        // 00000002CBF4: D1D30330 04C3EBF4
	v_max3_f32 v48, |v246|, |v247|, v48                        // 00000002CBFC: D1D30330 04C3EFF6
	v_max3_f32 v48, |v248|, |v249|, v48                        // 00000002CC04: D1D30330 04C3F3F8
	v_max3_f32 v48, |v250|, |v251|, v48                        // 00000002CC0C: D1D30330 04C3F7FA
	v_max3_f32 v48, |v252|, |v253|, v48                        // 00000002CC14: D1D30330 04C3FBFC
	v_max3_f32 v48, |v254|, |v255|, v48                        // 00000002CC1C: D1D30330 04C3FFFE
	ds_write_b32 v8, v48 offset:20992                          // 00000002CC24: D81A5200 00003008
	v_sub_f32_e32 v51, v13, v15                                // 00000002CC2C: 04661F0D
	v_cndmask_b32_e64 v51, v51, 0, s[40:41]                    // 00000002CC30: D1000033 00A10133
	v_mov_b32_e32 v13, v15                                     // 00000002CC38: 7E1A030F
	v_mul_f32_e32 v51, s64, v51                                // 00000002CC3C: 0A666640
	v_exp_f32_e32 v51, v51                                     // 00000002CC40: 7E664133
	s_waitcnt lgkmcnt(0)                                       // 00000002CC44: BF8CC07F
	s_barrier                                                  // 00000002CC48: BF8A0000
	ds_read_b32 v64, v7 offset:20992                           // 00000002CC4C: D86C5200 40000007
	ds_read_b32 v65, v7 offset:21056                           // 00000002CC54: D86C5240 41000007
	ds_read_b32 v66, v7 offset:21120                           // 00000002CC5C: D86C5280 42000007
	ds_read_b32 v67, v7 offset:21184                           // 00000002CC64: D86C52C0 43000007
	ds_read_b32 v68, v7 offset:21248                           // 00000002CC6C: D86C5300 44000007
	ds_read_b32 v69, v7 offset:21312                           // 00000002CC74: D86C5340 45000007
	ds_read_b32 v70, v7 offset:21376                           // 00000002CC7C: D86C5380 46000007
	ds_read_b32 v71, v7 offset:21440                           // 00000002CC84: D86C53C0 47000007
	ds_read_b32 v72, v7 offset:21504                           // 00000002CC8C: D86C5400 48000007
	ds_read_b32 v73, v7 offset:21568                           // 00000002CC94: D86C5440 49000007
	ds_read_b32 v74, v7 offset:21632                           // 00000002CC9C: D86C5480 4A000007
	ds_read_b32 v75, v7 offset:21696                           // 00000002CCA4: D86C54C0 4B000007
	ds_read_b32 v76, v7 offset:21760                           // 00000002CCAC: D86C5500 4C000007
	ds_read_b32 v77, v7 offset:21824                           // 00000002CCB4: D86C5540 4D000007
	ds_read_b32 v78, v7 offset:21888                           // 00000002CCBC: D86C5580 4E000007
	ds_read_b32 v79, v7 offset:21952                           // 00000002CCC4: D86C55C0 4F000007
	v_mul_f32_e32 v40, v51, v40                                // 00000002CCCC: 0A505133
	v_mov_b32_e32 v15, v144                                    // 00000002CCD0: 7E1E0390
	v_add_f32_e32 v15, v145, v15                               // 00000002CCD4: 021E1F91
	v_add_f32_e32 v15, v146, v15                               // 00000002CCD8: 021E1F92
	v_add_f32_e32 v15, v147, v15                               // 00000002CCDC: 021E1F93
	v_add_f32_e32 v15, v148, v15                               // 00000002CCE0: 021E1F94
	v_add_f32_e32 v15, v149, v15                               // 00000002CCE4: 021E1F95
	v_add_f32_e32 v15, v150, v15                               // 00000002CCE8: 021E1F96
	v_add_f32_e32 v15, v151, v15                               // 00000002CCEC: 021E1F97
	v_add_f32_e32 v15, v152, v15                               // 00000002CCF0: 021E1F98
	v_add_f32_e32 v15, v153, v15                               // 00000002CCF4: 021E1F99
	v_add_f32_e32 v15, v154, v15                               // 00000002CCF8: 021E1F9A
	v_add_f32_e32 v15, v155, v15                               // 00000002CCFC: 021E1F9B
	v_add_f32_e32 v15, v156, v15                               // 00000002CD00: 021E1F9C
	v_add_f32_e32 v15, v157, v15                               // 00000002CD04: 021E1F9D
	v_add_f32_e32 v15, v158, v15                               // 00000002CD08: 021E1F9E
	v_add_f32_e32 v15, v159, v15                               // 00000002CD0C: 021E1F9F
	v_add_f32_e32 v40, v15, v40                                // 00000002CD10: 0250510F
	s_waitcnt lgkmcnt(0)                                       // 00000002CD14: BF8CC07F
	v_max3_f32 v48, |v64|, |v65|, v48                          // 00000002CD18: D1D30330 04C28340
	v_max3_f32 v48, |v66|, |v67|, v48                          // 00000002CD20: D1D30330 04C28742
	v_max3_f32 v48, |v68|, |v69|, v48                          // 00000002CD28: D1D30330 04C28B44
	v_max3_f32 v48, |v70|, |v71|, v48                          // 00000002CD30: D1D30330 04C28F46
	v_max3_f32 v48, |v72|, |v73|, v48                          // 00000002CD38: D1D30330 04C29348
	v_max3_f32 v48, |v74|, |v75|, v48                          // 00000002CD40: D1D30330 04C2974A
	v_max3_f32 v48, |v76|, |v77|, v48                          // 00000002CD48: D1D30330 04C29B4C
	v_max3_f32 v48, |v78|, |v79|, v48                          // 00000002CD50: D1D30330 04C29F4E
	s_nop 2                                                    // 00000002CD58: BF800002
	v_rcp_f32_e32 v48, v48                                     // 00000002CD5C: 7E604530
	s_nop 1                                                    // 00000002CD60: BF800001
	v_mul_f32_e32 v48, 0x43e00000, v48                         // 00000002CD64: 0A6060FF 43E00000
	v_mul_f32_e32 v144, v48, v240                              // 00000002CD6C: 0B21E130
	v_mul_f32_e32 v145, v48, v241                              // 00000002CD70: 0B23E330
	v_mul_f32_e32 v146, v48, v242                              // 00000002CD74: 0B25E530
	v_mul_f32_e32 v147, v48, v243                              // 00000002CD78: 0B27E730
	v_mul_f32_e32 v148, v48, v244                              // 00000002CD7C: 0B29E930
	v_mul_f32_e32 v149, v48, v245                              // 00000002CD80: 0B2BEB30
	v_mul_f32_e32 v150, v48, v246                              // 00000002CD84: 0B2DED30
	v_mul_f32_e32 v151, v48, v247                              // 00000002CD88: 0B2FEF30
	v_mul_f32_e32 v152, v48, v248                              // 00000002CD8C: 0B31F130
	v_mul_f32_e32 v153, v48, v249                              // 00000002CD90: 0B33F330
	v_mul_f32_e32 v154, v48, v250                              // 00000002CD94: 0B35F530
	v_mul_f32_e32 v155, v48, v251                              // 00000002CD98: 0B37F730
	v_mul_f32_e32 v156, v48, v252                              // 00000002CD9C: 0B39F930
	v_mul_f32_e32 v157, v48, v253                              // 00000002CDA0: 0B3BFB30
	v_mul_f32_e32 v158, v48, v254                              // 00000002CDA4: 0B3DFD30
	v_mul_f32_e32 v159, v48, v255                              // 00000002CDA8: 0B3FFF30
	v_cvt_pk_fp8_f32 v144, v144, v145                          // 00000002CDAC: D2A20090 00032390
	v_cvt_pk_fp8_f32 v144, v146, v147 op_sel:[0,0,1]           // 00000002CDB4: D2A24090 00032792
	v_cvt_pk_fp8_f32 v145, v148, v149                          // 00000002CDBC: D2A20091 00032B94
	v_cvt_pk_fp8_f32 v145, v150, v151 op_sel:[0,0,1]           // 00000002CDC4: D2A24091 00032F96
	v_cvt_pk_fp8_f32 v146, v152, v153                          // 00000002CDCC: D2A20092 00033398
	v_cvt_pk_fp8_f32 v146, v154, v155 op_sel:[0,0,1]           // 00000002CDD4: D2A24092 0003379A
	v_cvt_pk_fp8_f32 v147, v156, v157                          // 00000002CDDC: D2A20093 00033B9C
	v_cvt_pk_fp8_f32 v147, v158, v159 op_sel:[0,0,1]           // 00000002CDE4: D2A24093 00033F9E
	ds_write_b32 v10, v144 offset:33280                        // 00000002CDEC: D81A8200 0000900A
	ds_write_b32 v10, v145 offset:34304                        // 00000002CDF4: D81A8600 0000910A
	ds_write_b32 v10, v146 offset:35328                        // 00000002CDFC: D81A8A00 0000920A
	ds_write_b32 v10, v147 offset:36352                        // 00000002CE04: D81A8E00 0000930A
	v_add_f32_e32 v224, v224, v192                             // 00000002CE0C: 03C181E0
	v_add_f32_e32 v225, v225, v193                             // 00000002CE10: 03C383E1
	v_add_f32_e32 v226, v226, v194                             // 00000002CE14: 03C585E2
	v_add_f32_e32 v227, v227, v195                             // 00000002CE18: 03C787E3
	v_add_f32_e32 v228, v228, v196                             // 00000002CE1C: 03C989E4
	v_add_f32_e32 v229, v229, v197                             // 00000002CE20: 03CB8BE5
	v_add_f32_e32 v230, v230, v198                             // 00000002CE24: 03CD8DE6
	v_add_f32_e32 v231, v231, v199                             // 00000002CE28: 03CF8FE7
	v_rcp_f32_e32 v46, v48                                     // 00000002CE2C: 7E5C4530
	s_waitcnt lgkmcnt(0)                                       // 00000002CE30: BF8CC07F
	s_barrier                                                  // 00000002CE34: BF8A0000
	ds_read_b64 v[144:145], v9 offset:33280                    // 00000002CE38: D8EC8200 90000009
	ds_read_b64 v[146:147], v9 offset:33408                    // 00000002CE40: D8EC8280 92000009
	ds_read_b64 v[148:149], v9 offset:34304                    // 00000002CE48: D8EC8600 94000009
	ds_read_b64 v[150:151], v9 offset:34432                    // 00000002CE50: D8EC8680 96000009
	ds_read_b64 v[152:153], v9 offset:35328                    // 00000002CE58: D8EC8A00 98000009
	ds_read_b64 v[154:155], v9 offset:35456                    // 00000002CE60: D8EC8A80 9A000009
	ds_read_b64 v[156:157], v9 offset:36352                    // 00000002CE68: D8EC8E00 9C000009
	ds_read_b64 v[158:159], v9 offset:36480                    // 00000002CE70: D8EC8E80 9E000009
	v_mov_b32_dpp v64, v43 row_shr:4 row_mask:0xf bank_mask:0xf// 00000002CE78: 7E8002FA FF01142B
	v_mov_b32_dpp v65, v43 row_shl:4 row_mask:0xf bank_mask:0xf// 00000002CE80: 7E8202FA FF01042B
	v_cndmask_b32_e64 v248, v43, v64, s[44:45]                 // 00000002CE88: D10000F8 00B2812B
	v_cndmask_b32_e64 v249, v65, v43, s[44:45]                 // 00000002CE90: D10000F9 00B25741
	v_mov_b32_dpp v64, v248 row_shr:8 row_mask:0xf bank_mask:0xf// 00000002CE98: 7E8002FA FF0118F8
	v_mov_b32_dpp v65, v248 row_shl:8 row_mask:0xf bank_mask:0xf// 00000002CEA0: 7E8202FA FF0108F8
	v_mov_b32_dpp v66, v249 row_shr:8 row_mask:0xf bank_mask:0xf// 00000002CEA8: 7E8402FA FF0118F9
	v_mov_b32_dpp v67, v249 row_shl:8 row_mask:0xf bank_mask:0xf// 00000002CEB0: 7E8602FA FF0108F9
	v_mov_b32_e32 v68, v248                                    // 00000002CEB8: 7E8803F8
	v_mov_b32_e32 v69, v249                                    // 00000002CEBC: 7E8A03F9
	v_cndmask_b32_e64 v248, v68, v64, s[42:43]                 // 00000002CEC0: D10000F8 00AA8144
	v_cndmask_b32_e64 v250, v68, v65, s[78:79]                 // 00000002CEC8: D10000FA 013A8344
	v_cndmask_b32_e64 v249, v69, v66, s[42:43]                 // 00000002CED0: D10000F9 00AA8545
	v_cndmask_b32_e64 v251, v69, v67, s[78:79]                 // 00000002CED8: D10000FB 013A8745
	v_mov_b32_dpp v64, v58 row_shr:4 row_mask:0xf bank_mask:0xf// 00000002CEE0: 7E8002FA FF01143A
	v_mov_b32_dpp v65, v58 row_shl:4 row_mask:0xf bank_mask:0xf// 00000002CEE8: 7E8202FA FF01043A
	v_cndmask_b32_e64 v252, v58, v64, s[44:45]                 // 00000002CEF0: D10000FC 00B2813A
	v_cndmask_b32_e64 v253, v65, v58, s[44:45]                 // 00000002CEF8: D10000FD 00B27541
	v_mov_b32_dpp v64, v252 row_shr:8 row_mask:0xf bank_mask:0xf// 00000002CF00: 7E8002FA FF0118FC
	v_mov_b32_dpp v65, v252 row_shl:8 row_mask:0xf bank_mask:0xf// 00000002CF08: 7E8202FA FF0108FC
	v_mov_b32_dpp v66, v253 row_shr:8 row_mask:0xf bank_mask:0xf// 00000002CF10: 7E8402FA FF0118FD
	v_mov_b32_dpp v67, v253 row_shl:8 row_mask:0xf bank_mask:0xf// 00000002CF18: 7E8602FA FF0108FD
	v_mov_b32_e32 v68, v252                                    // 00000002CF20: 7E8803FC
	v_mov_b32_e32 v69, v253                                    // 00000002CF24: 7E8A03FD
	v_cndmask_b32_e64 v252, v68, v64, s[42:43]                 // 00000002CF28: D10000FC 00AA8144
	v_cndmask_b32_e64 v254, v68, v65, s[78:79]                 // 00000002CF30: D10000FE 013A8344
	v_cndmask_b32_e64 v253, v69, v66, s[42:43]                 // 00000002CF38: D10000FD 00AA8545
	v_cndmask_b32_e64 v255, v69, v67, s[78:79]                 // 00000002CF40: D10000FF 013A8745
	v_mul_f32_e32 v160, v21, v160                              // 00000002CF48: 0B414115
	v_mul_f32_e32 v161, v21, v161                              // 00000002CF4C: 0B434315
	v_mul_f32_e32 v162, v21, v162                              // 00000002CF50: 0B454515
	v_mul_f32_e32 v163, v21, v163                              // 00000002CF54: 0B474715
	v_mul_f32_e32 v164, v21, v164                              // 00000002CF58: 0B494915
	v_mul_f32_e32 v165, v21, v165                              // 00000002CF5C: 0B4B4B15
	v_mul_f32_e32 v166, v21, v166                              // 00000002CF60: 0B4D4D15
	v_mul_f32_e32 v167, v21, v167                              // 00000002CF64: 0B4F4F15
	v_mul_f32_e32 v168, v21, v168                              // 00000002CF68: 0B515115
	v_mul_f32_e32 v169, v21, v169                              // 00000002CF6C: 0B535315
	v_mul_f32_e32 v170, v21, v170                              // 00000002CF70: 0B555515
	v_mul_f32_e32 v171, v21, v171                              // 00000002CF74: 0B575715
	v_mul_f32_e32 v172, v21, v172                              // 00000002CF78: 0B595915
	v_mul_f32_e32 v173, v21, v173                              // 00000002CF7C: 0B5B5B15
	v_mul_f32_e32 v174, v21, v174                              // 00000002CF80: 0B5D5D15
	v_mul_f32_e32 v175, v21, v175                              // 00000002CF84: 0B5F5F15
	v_mul_f32_dpp v160, v248, v160 quad_perm:[0,0,0,0] row_mask:0xf bank_mask:0xf// 00000002CF88: 0B4140FA FF0000F8
	v_mul_f32_dpp v161, v248, v161 quad_perm:[1,1,1,1] row_mask:0xf bank_mask:0xf// 00000002CF90: 0B4342FA FF0055F8
	v_mul_f32_dpp v162, v248, v162 quad_perm:[2,2,2,2] row_mask:0xf bank_mask:0xf// 00000002CF98: 0B4544FA FF00AAF8
	v_mul_f32_dpp v163, v248, v163 quad_perm:[3,3,3,3] row_mask:0xf bank_mask:0xf// 00000002CFA0: 0B4746FA FF00FFF8
	v_mul_f32_dpp v164, v249, v164 quad_perm:[0,0,0,0] row_mask:0xf bank_mask:0xf// 00000002CFA8: 0B4948FA FF0000F9
	v_mul_f32_dpp v165, v249, v165 quad_perm:[1,1,1,1] row_mask:0xf bank_mask:0xf// 00000002CFB0: 0B4B4AFA FF0055F9
	v_mul_f32_dpp v166, v249, v166 quad_perm:[2,2,2,2] row_mask:0xf bank_mask:0xf// 00000002CFB8: 0B4D4CFA FF00AAF9
	v_mul_f32_dpp v167, v249, v167 quad_perm:[3,3,3,3] row_mask:0xf bank_mask:0xf// 00000002CFC0: 0B4F4EFA FF00FFF9
	v_mul_f32_dpp v168, v250, v168 quad_perm:[0,0,0,0] row_mask:0xf bank_mask:0xf// 00000002CFC8: 0B5150FA FF0000FA
	v_mul_f32_dpp v169, v250, v169 quad_perm:[1,1,1,1] row_mask:0xf bank_mask:0xf// 00000002CFD0: 0B5352FA FF0055FA
	v_mul_f32_dpp v170, v250, v170 quad_perm:[2,2,2,2] row_mask:0xf bank_mask:0xf// 00000002CFD8: 0B5554FA FF00AAFA
	v_mul_f32_dpp v171, v250, v171 quad_perm:[3,3,3,3] row_mask:0xf bank_mask:0xf// 00000002CFE0: 0B5756FA FF00FFFA
	v_mul_f32_dpp v172, v251, v172 quad_perm:[0,0,0,0] row_mask:0xf bank_mask:0xf// 00000002CFE8: 0B5958FA FF0000FB
	v_mul_f32_dpp v173, v251, v173 quad_perm:[1,1,1,1] row_mask:0xf bank_mask:0xf// 00000002CFF0: 0B5B5AFA FF0055FB
	v_mul_f32_dpp v174, v251, v174 quad_perm:[2,2,2,2] row_mask:0xf bank_mask:0xf// 00000002CFF8: 0B5D5CFA FF00AAFB
	v_mul_f32_dpp v175, v251, v175 quad_perm:[3,3,3,3] row_mask:0xf bank_mask:0xf// 00000002D000: 0B5F5EFA FF00FFFB
	s_cmp_le_i32 s90, s89                                      // 00000002D008: BF05595A
	s_cbranch_scc1 label_ABF5                                  // 00000002D00C: BF850071
	v_mov_b32_e32 v66, 0xff800000                              // 00000002D010: 7E8402FF FF800000
	s_mov_b32 s60, s90                                         // 00000002D018: BEBC005A
	s_add_u32 s61, s89, 0xff                                   // 00000002D01C: 803DFF59 000000FF
	v_mov_b32_e32 v64, s61                                     // 00000002D024: 7E80023D
	v_lshrrev_b32_e32 v240, 4, v0                              // 00000002D028: 21E00084
	v_mul_i32_i24_e32 v240, 4, v240                            // 00000002D02C: 0DE1E084
	v_add_u32_e32 v240, s60, v240                              // 00000002D030: 69E1E03C
	s_mov_b32 s61, 3                                           // 00000002D034: BEBD0083
	s_mul_i32 s60, 16, s7                                      // 00000002D038: 923C0790
	v_sub_u32_e64 v240, v240, s61                              // 00000002D03C: D13500F0 00007BF0
	v_add_u32_e32 v240, s60, v240                              // 00000002D044: 69E1E03C
	v_add_u32_e32 v241, 1, v240                                // 00000002D048: 69E3E081
	v_add_u32_e32 v242, 2, v240                                // 00000002D04C: 69E5E082
	v_add_u32_e32 v243, 3, v240                                // 00000002D050: 69E7E083
	v_cmp_le_u32_e64 s[40:41], v240, v64                       // 00000002D054: D0CB0028 000281F0
	v_add_u32_e32 v240, 64, v240                               // 00000002D05C: 69E1E0C0
	s_nop 0                                                    // 00000002D060: BF800000
	v_cndmask_b32_e64 v160, v66, v160, s[40:41]                // 00000002D064: D10000A0 00A34142
	v_cmp_le_u32_e64 s[40:41], v241, v64                       // 00000002D06C: D0CB0028 000281F1
	v_add_u32_e32 v241, 64, v241                               // 00000002D074: 69E3E2C0
	s_nop 0                                                    // 00000002D078: BF800000
	v_cndmask_b32_e64 v161, v66, v161, s[40:41]                // 00000002D07C: D10000A1 00A34342
	v_cmp_le_u32_e64 s[40:41], v242, v64                       // 00000002D084: D0CB0028 000281F2
	v_add_u32_e32 v242, 64, v242                               // 00000002D08C: 69E5E4C0
	s_nop 0                                                    // 00000002D090: BF800000
	v_cndmask_b32_e64 v162, v66, v162, s[40:41]                // 00000002D094: D10000A2 00A34542
	v_cmp_le_u32_e64 s[40:41], v243, v64                       // 00000002D09C: D0CB0028 000281F3
	v_add_u32_e32 v243, 64, v243                               // 00000002D0A4: 69E7E6C0
	s_nop 0                                                    // 00000002D0A8: BF800000
	v_cndmask_b32_e64 v163, v66, v163, s[40:41]                // 00000002D0AC: D10000A3 00A34742
	v_cmp_le_u32_e64 s[40:41], v240, v64                       // 00000002D0B4: D0CB0028 000281F0
	v_add_u32_e32 v240, 64, v240                               // 00000002D0BC: 69E1E0C0
	s_nop 0                                                    // 00000002D0C0: BF800000
	v_cndmask_b32_e64 v164, v66, v164, s[40:41]                // 00000002D0C4: D10000A4 00A34942
	v_cmp_le_u32_e64 s[40:41], v241, v64                       // 00000002D0CC: D0CB0028 000281F1
	v_add_u32_e32 v241, 64, v241                               // 00000002D0D4: 69E3E2C0
	s_nop 0                                                    // 00000002D0D8: BF800000
	v_cndmask_b32_e64 v165, v66, v165, s[40:41]                // 00000002D0DC: D10000A5 00A34B42
	v_cmp_le_u32_e64 s[40:41], v242, v64                       // 00000002D0E4: D0CB0028 000281F2
	v_add_u32_e32 v242, 64, v242                               // 00000002D0EC: 69E5E4C0
	s_nop 0                                                    // 00000002D0F0: BF800000
	v_cndmask_b32_e64 v166, v66, v166, s[40:41]                // 00000002D0F4: D10000A6 00A34D42
	v_cmp_le_u32_e64 s[40:41], v243, v64                       // 00000002D0FC: D0CB0028 000281F3
	v_add_u32_e32 v243, 64, v243                               // 00000002D104: 69E7E6C0
	s_nop 0                                                    // 00000002D108: BF800000
	v_cndmask_b32_e64 v167, v66, v167, s[40:41]                // 00000002D10C: D10000A7 00A34F42
	v_cmp_le_u32_e64 s[40:41], v240, v64                       // 00000002D114: D0CB0028 000281F0
	v_add_u32_e32 v240, 64, v240                               // 00000002D11C: 69E1E0C0
	s_nop 0                                                    // 00000002D120: BF800000
	v_cndmask_b32_e64 v168, v66, v168, s[40:41]                // 00000002D124: D10000A8 00A35142
	v_cmp_le_u32_e64 s[40:41], v241, v64                       // 00000002D12C: D0CB0028 000281F1
	v_add_u32_e32 v241, 64, v241                               // 00000002D134: 69E3E2C0
	s_nop 0                                                    // 00000002D138: BF800000
	v_cndmask_b32_e64 v169, v66, v169, s[40:41]                // 00000002D13C: D10000A9 00A35342
	v_cmp_le_u32_e64 s[40:41], v242, v64                       // 00000002D144: D0CB0028 000281F2
	v_add_u32_e32 v242, 64, v242                               // 00000002D14C: 69E5E4C0
	s_nop 0                                                    // 00000002D150: BF800000
	v_cndmask_b32_e64 v170, v66, v170, s[40:41]                // 00000002D154: D10000AA 00A35542
	v_cmp_le_u32_e64 s[40:41], v243, v64                       // 00000002D15C: D0CB0028 000281F3
	v_add_u32_e32 v243, 64, v243                               // 00000002D164: 69E7E6C0
	s_nop 0                                                    // 00000002D168: BF800000
	v_cndmask_b32_e64 v171, v66, v171, s[40:41]                // 00000002D16C: D10000AB 00A35742
	v_cmp_le_u32_e64 s[40:41], v240, v64                       // 00000002D174: D0CB0028 000281F0
	v_add_u32_e32 v240, 64, v240                               // 00000002D17C: 69E1E0C0
	s_nop 0                                                    // 00000002D180: BF800000
	v_cndmask_b32_e64 v172, v66, v172, s[40:41]                // 00000002D184: D10000AC 00A35942
	v_cmp_le_u32_e64 s[40:41], v241, v64                       // 00000002D18C: D0CB0028 000281F1
	v_add_u32_e32 v241, 64, v241                               // 00000002D194: 69E3E2C0
	s_nop 0                                                    // 00000002D198: BF800000
	v_cndmask_b32_e64 v173, v66, v173, s[40:41]                // 00000002D19C: D10000AD 00A35B42
	v_cmp_le_u32_e64 s[40:41], v242, v64                       // 00000002D1A4: D0CB0028 000281F2
	v_add_u32_e32 v242, 64, v242                               // 00000002D1AC: 69E5E4C0
	s_nop 0                                                    // 00000002D1B0: BF800000
	v_cndmask_b32_e64 v174, v66, v174, s[40:41]                // 00000002D1B4: D10000AE 00A35D42
	v_cmp_le_u32_e64 s[40:41], v243, v64                       // 00000002D1BC: D0CB0028 000281F3
	v_add_u32_e32 v243, 64, v243                               // 00000002D1C4: 69E7E6C0
	s_nop 0                                                    // 00000002D1C8: BF800000
	v_cndmask_b32_e64 v175, v66, v175, s[40:41]                // 00000002D1CC: D10000AF 00A35F42

000000000002d1d4 <label_ABF5>:
	s_add_u32 s90, s91, s90                                    // 00000002D1D4: 805A5A5B
	s_and_b32 s60, s72, 0xff                                   // 00000002D1D8: 863CFF48 000000FF
	v_mov_b32_e32 v65, s60                                     // 00000002D1E0: 7E82023C
	v_lshrrev_b32_e32 v240, 4, v0                              // 00000002D1E4: 21E00084
	v_mul_i32_i24_e32 v240, 4, v240                            // 00000002D1E8: 0DE1E084
	s_mul_i32 s60, s7, 16                                      // 00000002D1EC: 923C9007
	v_add_u32_e32 v240, s60, v240                              // 00000002D1F0: 69E1E03C
	v_add_u32_e32 v241, 1, v240                                // 00000002D1F4: 69E3E081
	v_add_u32_e32 v242, 2, v240                                // 00000002D1F8: 69E5E082
	v_add_u32_e32 v243, 3, v240                                // 00000002D1FC: 69E7E083
	v_mov_b32_e32 v64, 0xff800000                              // 00000002D200: 7E8002FF FF800000
	v_cmp_lt_u32_e64 s[40:41], v240, v65                       // 00000002D208: D0C90028 000283F0
	v_add_u32_e32 v240, 64, v240                               // 00000002D210: 69E1E0C0
	s_nop 0                                                    // 00000002D214: BF800000
	v_cndmask_b32_e64 v160, v64, v160, s[40:41]                // 00000002D218: D10000A0 00A34140
	v_cmp_lt_u32_e64 s[40:41], v241, v65                       // 00000002D220: D0C90028 000283F1
	v_add_u32_e32 v241, 64, v241                               // 00000002D228: 69E3E2C0
	s_nop 0                                                    // 00000002D22C: BF800000
	v_cndmask_b32_e64 v161, v64, v161, s[40:41]                // 00000002D230: D10000A1 00A34340
	v_cmp_lt_u32_e64 s[40:41], v242, v65                       // 00000002D238: D0C90028 000283F2
	v_add_u32_e32 v242, 64, v242                               // 00000002D240: 69E5E4C0
	s_nop 0                                                    // 00000002D244: BF800000
	v_cndmask_b32_e64 v162, v64, v162, s[40:41]                // 00000002D248: D10000A2 00A34540
	v_cmp_lt_u32_e64 s[40:41], v243, v65                       // 00000002D250: D0C90028 000283F3
	v_add_u32_e32 v243, 64, v243                               // 00000002D258: 69E7E6C0
	s_nop 0                                                    // 00000002D25C: BF800000
	v_cndmask_b32_e64 v163, v64, v163, s[40:41]                // 00000002D260: D10000A3 00A34740
	v_cmp_lt_u32_e64 s[40:41], v240, v65                       // 00000002D268: D0C90028 000283F0
	v_add_u32_e32 v240, 64, v240                               // 00000002D270: 69E1E0C0
	s_nop 0                                                    // 00000002D274: BF800000
	v_cndmask_b32_e64 v164, v64, v164, s[40:41]                // 00000002D278: D10000A4 00A34940
	v_cmp_lt_u32_e64 s[40:41], v241, v65                       // 00000002D280: D0C90028 000283F1
	v_add_u32_e32 v241, 64, v241                               // 00000002D288: 69E3E2C0
	s_nop 0                                                    // 00000002D28C: BF800000
	v_cndmask_b32_e64 v165, v64, v165, s[40:41]                // 00000002D290: D10000A5 00A34B40
	v_cmp_lt_u32_e64 s[40:41], v242, v65                       // 00000002D298: D0C90028 000283F2
	v_add_u32_e32 v242, 64, v242                               // 00000002D2A0: 69E5E4C0
	s_nop 0                                                    // 00000002D2A4: BF800000
	v_cndmask_b32_e64 v166, v64, v166, s[40:41]                // 00000002D2A8: D10000A6 00A34D40
	v_cmp_lt_u32_e64 s[40:41], v243, v65                       // 00000002D2B0: D0C90028 000283F3
	v_add_u32_e32 v243, 64, v243                               // 00000002D2B8: 69E7E6C0
	s_nop 0                                                    // 00000002D2BC: BF800000
	v_cndmask_b32_e64 v167, v64, v167, s[40:41]                // 00000002D2C0: D10000A7 00A34F40
	v_cmp_lt_u32_e64 s[40:41], v240, v65                       // 00000002D2C8: D0C90028 000283F0
	v_add_u32_e32 v240, 64, v240                               // 00000002D2D0: 69E1E0C0
	s_nop 0                                                    // 00000002D2D4: BF800000
	v_cndmask_b32_e64 v168, v64, v168, s[40:41]                // 00000002D2D8: D10000A8 00A35140
	v_cmp_lt_u32_e64 s[40:41], v241, v65                       // 00000002D2E0: D0C90028 000283F1
	v_add_u32_e32 v241, 64, v241                               // 00000002D2E8: 69E3E2C0
	s_nop 0                                                    // 00000002D2EC: BF800000
	v_cndmask_b32_e64 v169, v64, v169, s[40:41]                // 00000002D2F0: D10000A9 00A35340
	v_cmp_lt_u32_e64 s[40:41], v242, v65                       // 00000002D2F8: D0C90028 000283F2
	v_add_u32_e32 v242, 64, v242                               // 00000002D300: 69E5E4C0
	s_nop 0                                                    // 00000002D304: BF800000
	v_cndmask_b32_e64 v170, v64, v170, s[40:41]                // 00000002D308: D10000AA 00A35540
	v_cmp_lt_u32_e64 s[40:41], v243, v65                       // 00000002D310: D0C90028 000283F3
	v_add_u32_e32 v243, 64, v243                               // 00000002D318: 69E7E6C0
	s_nop 0                                                    // 00000002D31C: BF800000
	v_cndmask_b32_e64 v171, v64, v171, s[40:41]                // 00000002D320: D10000AB 00A35740
	v_cmp_lt_u32_e64 s[40:41], v240, v65                       // 00000002D328: D0C90028 000283F0
	v_add_u32_e32 v240, 64, v240                               // 00000002D330: 69E1E0C0
	s_nop 0                                                    // 00000002D334: BF800000
	v_cndmask_b32_e64 v172, v64, v172, s[40:41]                // 00000002D338: D10000AC 00A35940
	v_cmp_lt_u32_e64 s[40:41], v241, v65                       // 00000002D340: D0C90028 000283F1
	v_add_u32_e32 v241, 64, v241                               // 00000002D348: 69E3E2C0
	s_nop 0                                                    // 00000002D34C: BF800000
	v_cndmask_b32_e64 v173, v64, v173, s[40:41]                // 00000002D350: D10000AD 00A35B40
	v_cmp_lt_u32_e64 s[40:41], v242, v65                       // 00000002D358: D0C90028 000283F2
	v_add_u32_e32 v242, 64, v242                               // 00000002D360: 69E5E4C0
	s_nop 0                                                    // 00000002D364: BF800000
	v_cndmask_b32_e64 v174, v64, v174, s[40:41]                // 00000002D368: D10000AE 00A35D40
	v_cmp_lt_u32_e64 s[40:41], v243, v65                       // 00000002D370: D0C90028 000283F3
	v_add_u32_e32 v243, 64, v243                               // 00000002D378: 69E7E6C0
	s_nop 0                                                    // 00000002D37C: BF800000
	v_cndmask_b32_e64 v175, v64, v175, s[40:41]                // 00000002D380: D10000AF 00A35F40
	v_mov_b32_e32 v48, v160                                    // 00000002D388: 7E6003A0
	v_max3_f32 v48, v160, v161, v48                            // 00000002D38C: D1D30030 04C343A0
	v_max3_f32 v48, v162, v163, v48                            // 00000002D394: D1D30030 04C347A2
	v_max3_f32 v48, v164, v165, v48                            // 00000002D39C: D1D30030 04C34BA4
	v_max3_f32 v48, v166, v167, v48                            // 00000002D3A4: D1D30030 04C34FA6
	v_max3_f32 v48, v168, v169, v48                            // 00000002D3AC: D1D30030 04C353A8
	v_max3_f32 v48, v170, v171, v48                            // 00000002D3B4: D1D30030 04C357AA
	v_max3_f32 v48, v172, v173, v48                            // 00000002D3BC: D1D30030 04C35BAC
	v_max3_f32 v48, v174, v175, v48                            // 00000002D3C4: D1D30030 04C35FAE
	ds_write_b32 v8, v48 offset:16896                          // 00000002D3CC: D81A4200 00003008
	v_mul_f32_e32 v232, v52, v232                              // 00000002D3D4: 0BD1D134
	v_mul_f32_e32 v233, v52, v233                              // 00000002D3D8: 0BD3D334
	v_mul_f32_e32 v234, v52, v234                              // 00000002D3DC: 0BD5D534
	v_mul_f32_e32 v235, v52, v235                              // 00000002D3E0: 0BD7D734
	v_mul_f32_e32 v236, v52, v236                              // 00000002D3E4: 0BD9D934
	v_mul_f32_e32 v237, v52, v237                              // 00000002D3E8: 0BDBDB34
	v_mul_f32_e32 v238, v52, v238                              // 00000002D3EC: 0BDDDD34
	v_mul_f32_e32 v239, v52, v239                              // 00000002D3F0: 0BDFDF34
	s_waitcnt lgkmcnt(0)                                       // 00000002D3F4: BF8CC07F
	s_barrier                                                  // 00000002D3F8: BF8A0000
	ds_read_b32 v64, v7 offset:16896                           // 00000002D3FC: D86C4200 40000007
	ds_read_b32 v65, v7 offset:16960                           // 00000002D404: D86C4240 41000007
	ds_read_b32 v66, v7 offset:17024                           // 00000002D40C: D86C4280 42000007
	ds_read_b32 v67, v7 offset:17088                           // 00000002D414: D86C42C0 43000007
	ds_read_b32 v68, v7 offset:17152                           // 00000002D41C: D86C4300 44000007
	ds_read_b32 v69, v7 offset:17216                           // 00000002D424: D86C4340 45000007
	ds_read_b32 v70, v7 offset:17280                           // 00000002D42C: D86C4380 46000007
	ds_read_b32 v71, v7 offset:17344                           // 00000002D434: D86C43C0 47000007
	ds_read_b32 v72, v7 offset:17408                           // 00000002D43C: D86C4400 48000007
	ds_read_b32 v73, v7 offset:17472                           // 00000002D444: D86C4440 49000007
	ds_read_b32 v74, v7 offset:17536                           // 00000002D44C: D86C4480 4A000007
	ds_read_b32 v75, v7 offset:17600                           // 00000002D454: D86C44C0 4B000007
	ds_read_b32 v76, v7 offset:17664                           // 00000002D45C: D86C4500 4C000007
	ds_read_b32 v77, v7 offset:17728                           // 00000002D464: D86C4540 4D000007
	ds_read_b32 v78, v7 offset:17792                           // 00000002D46C: D86C4580 4E000007
	ds_read_b32 v79, v7 offset:17856                           // 00000002D474: D86C45C0 4F000007
	v_mul_f32_e32 v200, v47, v200                              // 00000002D47C: 0B91912F
	v_mul_f32_e32 v201, v47, v201                              // 00000002D480: 0B93932F
	v_mul_f32_e32 v202, v47, v202                              // 00000002D484: 0B95952F
	v_mul_f32_e32 v203, v47, v203                              // 00000002D488: 0B97972F
	v_mul_f32_e32 v204, v47, v204                              // 00000002D48C: 0B99992F
	v_mul_f32_e32 v205, v47, v205                              // 00000002D490: 0B9B9B2F
	v_mul_f32_e32 v206, v47, v206                              // 00000002D494: 0B9D9D2F
	v_mul_f32_e32 v207, v47, v207                              // 00000002D498: 0B9F9F2F
	s_waitcnt lgkmcnt(0)                                       // 00000002D49C: BF8CC07F
	v_max3_f32 v48, v64, v65, v48                              // 00000002D4A0: D1D30030 04C28340
	v_max3_f32 v48, v66, v67, v48                              // 00000002D4A8: D1D30030 04C28742
	v_max3_f32 v48, v68, v69, v48                              // 00000002D4B0: D1D30030 04C28B44
	v_max3_f32 v48, v70, v71, v48                              // 00000002D4B8: D1D30030 04C28F46
	v_max3_f32 v48, v72, v73, v48                              // 00000002D4C0: D1D30030 04C29348
	v_max3_f32 v48, v74, v75, v48                              // 00000002D4C8: D1D30030 04C2974A
	v_max3_f32 v48, v76, v77, v48                              // 00000002D4D0: D1D30030 04C29B4C
	v_max3_f32 v48, v78, v79, v48                              // 00000002D4D8: D1D30030 04C29F4E
	v_mov_b32_e32 v64, 0xff800000                              // 00000002D4E0: 7E8002FF FF800000
	v_cmp_eq_u32_e64 s[40:41], v64, v14                        // 00000002D4E8: D0CA0028 00021D40
	s_nop 1                                                    // 00000002D4F0: BF800001
	v_max_f32_e32 v15, v48, v14                                // 00000002D4F4: 161E1D30
	v_mul_f32_e32 v53, s64, v15                                // 00000002D4F8: 0A6A1E40
	v_fma_f32 v160, v160, s64, -v53                            // 00000002D4FC: D1CB00A0 84D481A0
	v_fma_f32 v161, v161, s64, -v53                            // 00000002D504: D1CB00A1 84D481A1
	v_fma_f32 v162, v162, s64, -v53                            // 00000002D50C: D1CB00A2 84D481A2
	v_fma_f32 v163, v163, s64, -v53                            // 00000002D514: D1CB00A3 84D481A3
	v_fma_f32 v164, v164, s64, -v53                            // 00000002D51C: D1CB00A4 84D481A4
	v_fma_f32 v165, v165, s64, -v53                            // 00000002D524: D1CB00A5 84D481A5
	v_fma_f32 v166, v166, s64, -v53                            // 00000002D52C: D1CB00A6 84D481A6
	v_fma_f32 v167, v167, s64, -v53                            // 00000002D534: D1CB00A7 84D481A7
	v_fma_f32 v168, v168, s64, -v53                            // 00000002D53C: D1CB00A8 84D481A8
	v_fma_f32 v169, v169, s64, -v53                            // 00000002D544: D1CB00A9 84D481A9
	v_fma_f32 v170, v170, s64, -v53                            // 00000002D54C: D1CB00AA 84D481AA
	v_fma_f32 v171, v171, s64, -v53                            // 00000002D554: D1CB00AB 84D481AB
	v_fma_f32 v172, v172, s64, -v53                            // 00000002D55C: D1CB00AC 84D481AC
	v_fma_f32 v173, v173, s64, -v53                            // 00000002D564: D1CB00AD 84D481AD
	v_fma_f32 v174, v174, s64, -v53                            // 00000002D56C: D1CB00AE 84D481AE
	v_fma_f32 v175, v175, s64, -v53                            // 00000002D574: D1CB00AF 84D481AF
	v_exp_f32_e32 v160, v160                                   // 00000002D57C: 7F4041A0
	v_exp_f32_e32 v161, v161                                   // 00000002D580: 7F4241A1
	v_exp_f32_e32 v162, v162                                   // 00000002D584: 7F4441A2
	v_exp_f32_e32 v163, v163                                   // 00000002D588: 7F4641A3
	v_exp_f32_e32 v164, v164                                   // 00000002D58C: 7F4841A4
	v_exp_f32_e32 v165, v165                                   // 00000002D590: 7F4A41A5
	v_exp_f32_e32 v166, v166                                   // 00000002D594: 7F4C41A6
	v_exp_f32_e32 v167, v167                                   // 00000002D598: 7F4E41A7
	v_exp_f32_e32 v168, v168                                   // 00000002D59C: 7F5041A8
	v_exp_f32_e32 v169, v169                                   // 00000002D5A0: 7F5241A9
	v_exp_f32_e32 v170, v170                                   // 00000002D5A4: 7F5441AA
	v_exp_f32_e32 v171, v171                                   // 00000002D5A8: 7F5641AB
	v_exp_f32_e32 v172, v172                                   // 00000002D5AC: 7F5841AC
	v_exp_f32_e32 v173, v173                                   // 00000002D5B0: 7F5A41AD
	v_exp_f32_e32 v174, v174                                   // 00000002D5B4: 7F5C41AE
	v_exp_f32_e32 v175, v175                                   // 00000002D5B8: 7F5E41AF
	v_mul_f32_dpp v240, v252, v160 quad_perm:[0,0,0,0] row_mask:0xf bank_mask:0xf// 00000002D5BC: 0BE140FA FF0000FC
	v_mul_f32_dpp v241, v252, v161 quad_perm:[1,1,1,1] row_mask:0xf bank_mask:0xf// 00000002D5C4: 0BE342FA FF0055FC
	v_mul_f32_dpp v242, v252, v162 quad_perm:[2,2,2,2] row_mask:0xf bank_mask:0xf// 00000002D5CC: 0BE544FA FF00AAFC
	v_mul_f32_dpp v243, v252, v163 quad_perm:[3,3,3,3] row_mask:0xf bank_mask:0xf// 00000002D5D4: 0BE746FA FF00FFFC
	v_mul_f32_dpp v244, v253, v164 quad_perm:[0,0,0,0] row_mask:0xf bank_mask:0xf// 00000002D5DC: 0BE948FA FF0000FD
	v_mul_f32_dpp v245, v253, v165 quad_perm:[1,1,1,1] row_mask:0xf bank_mask:0xf// 00000002D5E4: 0BEB4AFA FF0055FD
	v_mul_f32_dpp v246, v253, v166 quad_perm:[2,2,2,2] row_mask:0xf bank_mask:0xf// 00000002D5EC: 0BED4CFA FF00AAFD
	v_mul_f32_dpp v247, v253, v167 quad_perm:[3,3,3,3] row_mask:0xf bank_mask:0xf// 00000002D5F4: 0BEF4EFA FF00FFFD
	v_mul_f32_dpp v248, v254, v168 quad_perm:[0,0,0,0] row_mask:0xf bank_mask:0xf// 00000002D5FC: 0BF150FA FF0000FE
	v_mul_f32_dpp v249, v254, v169 quad_perm:[1,1,1,1] row_mask:0xf bank_mask:0xf// 00000002D604: 0BF352FA FF0055FE
	v_mul_f32_dpp v250, v254, v170 quad_perm:[2,2,2,2] row_mask:0xf bank_mask:0xf// 00000002D60C: 0BF554FA FF00AAFE
	v_mul_f32_dpp v251, v254, v171 quad_perm:[3,3,3,3] row_mask:0xf bank_mask:0xf// 00000002D614: 0BF756FA FF00FFFE
	v_mul_f32_dpp v252, v255, v172 quad_perm:[0,0,0,0] row_mask:0xf bank_mask:0xf// 00000002D61C: 0BF958FA FF0000FF
	v_mul_f32_dpp v253, v255, v173 quad_perm:[1,1,1,1] row_mask:0xf bank_mask:0xf// 00000002D624: 0BFB5AFA FF0055FF
	v_mul_f32_dpp v254, v255, v174 quad_perm:[2,2,2,2] row_mask:0xf bank_mask:0xf// 00000002D62C: 0BFD5CFA FF00AAFF
	v_mul_f32_dpp v255, v255, v175 quad_perm:[3,3,3,3] row_mask:0xf bank_mask:0xf// 00000002D634: 0BFF5EFA FF00FFFF
	v_mov_b32_e32 v48, 0x358637bd                              // 00000002D63C: 7E6002FF 358637BD
	v_max3_f32 v48, |v240|, |v241|, v48                        // 00000002D644: D1D30330 04C3E3F0
	v_max3_f32 v48, |v242|, |v243|, v48                        // 00000002D64C: D1D30330 04C3E7F2
	v_max3_f32 v48, |v244|, |v245|, v48                        // 00000002D654: D1D30330 04C3EBF4
	v_max3_f32 v48, |v246|, |v247|, v48                        // 00000002D65C: D1D30330 04C3EFF6
	v_max3_f32 v48, |v248|, |v249|, v48                        // 00000002D664: D1D30330 04C3F3F8
	v_max3_f32 v48, |v250|, |v251|, v48                        // 00000002D66C: D1D30330 04C3F7FA
	v_max3_f32 v48, |v252|, |v253|, v48                        // 00000002D674: D1D30330 04C3FBFC
	v_max3_f32 v48, |v254|, |v255|, v48                        // 00000002D67C: D1D30330 04C3FFFE
	ds_write_b32 v8, v48 offset:20992                          // 00000002D684: D81A5200 00003008
	v_sub_f32_e32 v52, v14, v15                                // 00000002D68C: 04681F0E
	v_cndmask_b32_e64 v52, v52, 0, s[40:41]                    // 00000002D690: D1000034 00A10134
	v_mov_b32_e32 v14, v15                                     // 00000002D698: 7E1C030F
	v_mul_f32_e32 v52, s64, v52                                // 00000002D69C: 0A686840
	v_exp_f32_e32 v52, v52                                     // 00000002D6A0: 7E684134
	s_waitcnt lgkmcnt(0)                                       // 00000002D6A4: BF8CC07F
	s_barrier                                                  // 00000002D6A8: BF8A0000
	ds_read_b32 v64, v7 offset:20992                           // 00000002D6AC: D86C5200 40000007
	ds_read_b32 v65, v7 offset:21056                           // 00000002D6B4: D86C5240 41000007
	ds_read_b32 v66, v7 offset:21120                           // 00000002D6BC: D86C5280 42000007
	ds_read_b32 v67, v7 offset:21184                           // 00000002D6C4: D86C52C0 43000007
	ds_read_b32 v68, v7 offset:21248                           // 00000002D6CC: D86C5300 44000007
	ds_read_b32 v69, v7 offset:21312                           // 00000002D6D4: D86C5340 45000007
	ds_read_b32 v70, v7 offset:21376                           // 00000002D6DC: D86C5380 46000007
	ds_read_b32 v71, v7 offset:21440                           // 00000002D6E4: D86C53C0 47000007
	ds_read_b32 v72, v7 offset:21504                           // 00000002D6EC: D86C5400 48000007
	ds_read_b32 v73, v7 offset:21568                           // 00000002D6F4: D86C5440 49000007
	ds_read_b32 v74, v7 offset:21632                           // 00000002D6FC: D86C5480 4A000007
	ds_read_b32 v75, v7 offset:21696                           // 00000002D704: D86C54C0 4B000007
	ds_read_b32 v76, v7 offset:21760                           // 00000002D70C: D86C5500 4C000007
	ds_read_b32 v77, v7 offset:21824                           // 00000002D714: D86C5540 4D000007
	ds_read_b32 v78, v7 offset:21888                           // 00000002D71C: D86C5580 4E000007
	ds_read_b32 v79, v7 offset:21952                           // 00000002D724: D86C55C0 4F000007
	v_mul_f32_e32 v41, v52, v41                                // 00000002D72C: 0A525334
	v_mov_b32_e32 v15, v160                                    // 00000002D730: 7E1E03A0
	v_add_f32_e32 v15, v161, v15                               // 00000002D734: 021E1FA1
	v_add_f32_e32 v15, v162, v15                               // 00000002D738: 021E1FA2
	v_add_f32_e32 v15, v163, v15                               // 00000002D73C: 021E1FA3
	v_add_f32_e32 v15, v164, v15                               // 00000002D740: 021E1FA4
	v_add_f32_e32 v15, v165, v15                               // 00000002D744: 021E1FA5
	v_add_f32_e32 v15, v166, v15                               // 00000002D748: 021E1FA6
	v_add_f32_e32 v15, v167, v15                               // 00000002D74C: 021E1FA7
	v_add_f32_e32 v15, v168, v15                               // 00000002D750: 021E1FA8
	v_add_f32_e32 v15, v169, v15                               // 00000002D754: 021E1FA9
	v_add_f32_e32 v15, v170, v15                               // 00000002D758: 021E1FAA
	v_add_f32_e32 v15, v171, v15                               // 00000002D75C: 021E1FAB
	v_add_f32_e32 v15, v172, v15                               // 00000002D760: 021E1FAC
	v_add_f32_e32 v15, v173, v15                               // 00000002D764: 021E1FAD
	v_add_f32_e32 v15, v174, v15                               // 00000002D768: 021E1FAE
	v_add_f32_e32 v15, v175, v15                               // 00000002D76C: 021E1FAF
	v_add_f32_e32 v41, v15, v41                                // 00000002D770: 0252530F
	s_waitcnt lgkmcnt(0)                                       // 00000002D774: BF8CC07F
	v_max3_f32 v48, |v64|, |v65|, v48                          // 00000002D778: D1D30330 04C28340
	v_max3_f32 v48, |v66|, |v67|, v48                          // 00000002D780: D1D30330 04C28742
	v_max3_f32 v48, |v68|, |v69|, v48                          // 00000002D788: D1D30330 04C28B44
	v_max3_f32 v48, |v70|, |v71|, v48                          // 00000002D790: D1D30330 04C28F46
	v_max3_f32 v48, |v72|, |v73|, v48                          // 00000002D798: D1D30330 04C29348
	v_max3_f32 v48, |v74|, |v75|, v48                          // 00000002D7A0: D1D30330 04C2974A
	v_max3_f32 v48, |v76|, |v77|, v48                          // 00000002D7A8: D1D30330 04C29B4C
	v_max3_f32 v48, |v78|, |v79|, v48                          // 00000002D7B0: D1D30330 04C29F4E
	s_nop 2                                                    // 00000002D7B8: BF800002
	v_rcp_f32_e32 v48, v48                                     // 00000002D7BC: 7E604530
	s_nop 1                                                    // 00000002D7C0: BF800001
	v_mul_f32_e32 v48, 0x43e00000, v48                         // 00000002D7C4: 0A6060FF 43E00000
	v_mul_f32_e32 v160, v48, v240                              // 00000002D7CC: 0B41E130
	v_mul_f32_e32 v161, v48, v241                              // 00000002D7D0: 0B43E330
	v_mul_f32_e32 v162, v48, v242                              // 00000002D7D4: 0B45E530
	v_mul_f32_e32 v163, v48, v243                              // 00000002D7D8: 0B47E730
	v_mul_f32_e32 v164, v48, v244                              // 00000002D7DC: 0B49E930
	v_mul_f32_e32 v165, v48, v245                              // 00000002D7E0: 0B4BEB30
	v_mul_f32_e32 v166, v48, v246                              // 00000002D7E4: 0B4DED30
	v_mul_f32_e32 v167, v48, v247                              // 00000002D7E8: 0B4FEF30
	v_mul_f32_e32 v168, v48, v248                              // 00000002D7EC: 0B51F130
	v_mul_f32_e32 v169, v48, v249                              // 00000002D7F0: 0B53F330
	v_mul_f32_e32 v170, v48, v250                              // 00000002D7F4: 0B55F530
	v_mul_f32_e32 v171, v48, v251                              // 00000002D7F8: 0B57F730
	v_mul_f32_e32 v172, v48, v252                              // 00000002D7FC: 0B59F930
	v_mul_f32_e32 v173, v48, v253                              // 00000002D800: 0B5BFB30
	v_mul_f32_e32 v174, v48, v254                              // 00000002D804: 0B5DFD30
	v_mul_f32_e32 v175, v48, v255                              // 00000002D808: 0B5FFF30
	v_cvt_pk_fp8_f32 v160, v160, v161                          // 00000002D80C: D2A200A0 000343A0
	v_cvt_pk_fp8_f32 v160, v162, v163 op_sel:[0,0,1]           // 00000002D814: D2A240A0 000347A2
	v_cvt_pk_fp8_f32 v161, v164, v165                          // 00000002D81C: D2A200A1 00034BA4
	v_cvt_pk_fp8_f32 v161, v166, v167 op_sel:[0,0,1]           // 00000002D824: D2A240A1 00034FA6
	v_cvt_pk_fp8_f32 v162, v168, v169                          // 00000002D82C: D2A200A2 000353A8
	v_cvt_pk_fp8_f32 v162, v170, v171 op_sel:[0,0,1]           // 00000002D834: D2A240A2 000357AA
	v_cvt_pk_fp8_f32 v163, v172, v173                          // 00000002D83C: D2A200A3 00035BAC
	v_cvt_pk_fp8_f32 v163, v174, v175 op_sel:[0,0,1]           // 00000002D844: D2A240A3 00035FAE
	ds_write_b32 v10, v160 offset:37376                        // 00000002D84C: D81A9200 0000A00A
	ds_write_b32 v10, v161 offset:38400                        // 00000002D854: D81A9600 0000A10A
	ds_write_b32 v10, v162 offset:39424                        // 00000002D85C: D81A9A00 0000A20A
	ds_write_b32 v10, v163 offset:40448                        // 00000002D864: D81A9E00 0000A30A
	v_add_f32_e32 v232, v232, v200                             // 00000002D86C: 03D191E8
	v_add_f32_e32 v233, v233, v201                             // 00000002D870: 03D393E9
	v_add_f32_e32 v234, v234, v202                             // 00000002D874: 03D595EA
	v_add_f32_e32 v235, v235, v203                             // 00000002D878: 03D797EB
	v_add_f32_e32 v236, v236, v204                             // 00000002D87C: 03D999EC
	v_add_f32_e32 v237, v237, v205                             // 00000002D880: 03DB9BED
	v_add_f32_e32 v238, v238, v206                             // 00000002D884: 03DD9DEE
	v_add_f32_e32 v239, v239, v207                             // 00000002D888: 03DF9FEF
	v_rcp_f32_e32 v47, v48                                     // 00000002D88C: 7E5E4530
	s_waitcnt lgkmcnt(0)                                       // 00000002D890: BF8CC07F
	s_barrier                                                  // 00000002D894: BF8A0000
	ds_read_b64 v[160:161], v9 offset:37376                    // 00000002D898: D8EC9200 A0000009
	ds_read_b64 v[162:163], v9 offset:37504                    // 00000002D8A0: D8EC9280 A2000009
	ds_read_b64 v[164:165], v9 offset:38400                    // 00000002D8A8: D8EC9600 A4000009
	ds_read_b64 v[166:167], v9 offset:38528                    // 00000002D8B0: D8EC9680 A6000009
	ds_read_b64 v[168:169], v9 offset:39424                    // 00000002D8B8: D8EC9A00 A8000009
	ds_read_b64 v[170:171], v9 offset:39552                    // 00000002D8C0: D8EC9A80 AA000009
	ds_read_b64 v[172:173], v9 offset:40448                    // 00000002D8C8: D8EC9E00 AC000009
	ds_read_b64 v[174:175], v9 offset:40576                    // 00000002D8D0: D8EC9E80 AE000009
	s_waitcnt vmcnt(0)                                         // 00000002D8D8: BF8C0F70
	s_barrier                                                  // 00000002D8DC: BF8A0000
	v_mfma_f32_16x16x32_fp8_fp8 v[176:179], a[96:97], v[112:113], 0// 00000002D8E0: D3F300B0 0A02E160
	v_mfma_f32_16x16x32_fp8_fp8 v[176:179], a[98:99], v[114:115], v[176:179]// 00000002D8E8: D3F300B0 0EC2E562
	v_mfma_f32_16x16x32_fp8_fp8 v[176:179], a[100:101], v[116:117], v[176:179]// 00000002D8F0: D3F300B0 0EC2E964
	v_mfma_f32_16x16x32_fp8_fp8 v[176:179], a[102:103], v[118:119], v[176:179]// 00000002D8F8: D3F300B0 0EC2ED66
	v_mfma_f32_16x16x32_fp8_fp8 v[176:179], a[104:105], v[120:121], v[176:179]// 00000002D900: D3F300B0 0EC2F168
	v_mfma_f32_16x16x32_fp8_fp8 v[176:179], a[106:107], v[122:123], v[176:179]// 00000002D908: D3F300B0 0EC2F56A
	v_mfma_f32_16x16x32_fp8_fp8 v[176:179], a[108:109], v[124:125], v[176:179]// 00000002D910: D3F300B0 0EC2F96C
	v_mfma_f32_16x16x32_fp8_fp8 v[176:179], a[110:111], v[126:127], v[176:179]// 00000002D918: D3F300B0 0EC2FD6E
	v_mfma_f32_16x16x32_fp8_fp8 v[180:183], a[112:113], v[112:113], 0// 00000002D920: D3F300B4 0A02E170
	v_mfma_f32_16x16x32_fp8_fp8 v[180:183], a[114:115], v[114:115], v[180:183]// 00000002D928: D3F300B4 0ED2E572
	v_mfma_f32_16x16x32_fp8_fp8 v[180:183], a[116:117], v[116:117], v[180:183]// 00000002D930: D3F300B4 0ED2E974
	v_mfma_f32_16x16x32_fp8_fp8 v[180:183], a[118:119], v[118:119], v[180:183]// 00000002D938: D3F300B4 0ED2ED76
	v_mfma_f32_16x16x32_fp8_fp8 v[180:183], a[120:121], v[120:121], v[180:183]// 00000002D940: D3F300B4 0ED2F178
	v_mfma_f32_16x16x32_fp8_fp8 v[180:183], a[122:123], v[122:123], v[180:183]// 00000002D948: D3F300B4 0ED2F57A
	v_mfma_f32_16x16x32_fp8_fp8 v[180:183], a[124:125], v[124:125], v[180:183]// 00000002D950: D3F300B4 0ED2F97C
	v_mfma_f32_16x16x32_fp8_fp8 v[180:183], a[126:127], v[126:127], v[180:183]// 00000002D958: D3F300B4 0ED2FD7E
	v_mfma_f32_16x16x32_fp8_fp8 v[184:187], a[96:97], v[128:129], 0// 00000002D960: D3F300B8 0A030160
	v_mfma_f32_16x16x32_fp8_fp8 v[184:187], a[98:99], v[130:131], v[184:187]// 00000002D968: D3F300B8 0EE30562
	v_mfma_f32_16x16x32_fp8_fp8 v[184:187], a[100:101], v[132:133], v[184:187]// 00000002D970: D3F300B8 0EE30964
	v_mfma_f32_16x16x32_fp8_fp8 v[184:187], a[102:103], v[134:135], v[184:187]// 00000002D978: D3F300B8 0EE30D66
	v_mfma_f32_16x16x32_fp8_fp8 v[184:187], a[104:105], v[136:137], v[184:187]// 00000002D980: D3F300B8 0EE31168
	v_mfma_f32_16x16x32_fp8_fp8 v[184:187], a[106:107], v[138:139], v[184:187]// 00000002D988: D3F300B8 0EE3156A
	v_mfma_f32_16x16x32_fp8_fp8 v[184:187], a[108:109], v[140:141], v[184:187]// 00000002D990: D3F300B8 0EE3196C
	v_mfma_f32_16x16x32_fp8_fp8 v[184:187], a[110:111], v[142:143], v[184:187]// 00000002D998: D3F300B8 0EE31D6E
	v_mfma_f32_16x16x32_fp8_fp8 v[188:191], a[112:113], v[128:129], 0// 00000002D9A0: D3F300BC 0A030170
	v_mfma_f32_16x16x32_fp8_fp8 v[188:191], a[114:115], v[130:131], v[188:191]// 00000002D9A8: D3F300BC 0EF30572
	v_mfma_f32_16x16x32_fp8_fp8 v[188:191], a[116:117], v[132:133], v[188:191]// 00000002D9B0: D3F300BC 0EF30974
	v_mfma_f32_16x16x32_fp8_fp8 v[188:191], a[118:119], v[134:135], v[188:191]// 00000002D9B8: D3F300BC 0EF30D76
	v_mfma_f32_16x16x32_fp8_fp8 v[188:191], a[120:121], v[136:137], v[188:191]// 00000002D9C0: D3F300BC 0EF31178
	v_mfma_f32_16x16x32_fp8_fp8 v[188:191], a[122:123], v[138:139], v[188:191]// 00000002D9C8: D3F300BC 0EF3157A
	v_mfma_f32_16x16x32_fp8_fp8 v[188:191], a[124:125], v[140:141], v[188:191]// 00000002D9D0: D3F300BC 0EF3197C
	v_mfma_f32_16x16x32_fp8_fp8 v[188:191], a[126:127], v[142:143], v[188:191]// 00000002D9D8: D3F300BC 0EF31D7E
	v_mfma_f32_16x16x32_fp8_fp8 v[192:195], a[96:97], v[144:145], 0// 00000002D9E0: D3F300C0 0A032160
	v_mfma_f32_16x16x32_fp8_fp8 v[192:195], a[98:99], v[146:147], v[192:195]// 00000002D9E8: D3F300C0 0F032562
	v_mfma_f32_16x16x32_fp8_fp8 v[192:195], a[100:101], v[148:149], v[192:195]// 00000002D9F0: D3F300C0 0F032964
	v_mfma_f32_16x16x32_fp8_fp8 v[192:195], a[102:103], v[150:151], v[192:195]// 00000002D9F8: D3F300C0 0F032D66
	v_mfma_f32_16x16x32_fp8_fp8 v[192:195], a[104:105], v[152:153], v[192:195]// 00000002DA00: D3F300C0 0F033168
	v_mfma_f32_16x16x32_fp8_fp8 v[192:195], a[106:107], v[154:155], v[192:195]// 00000002DA08: D3F300C0 0F03356A
	v_mfma_f32_16x16x32_fp8_fp8 v[192:195], a[108:109], v[156:157], v[192:195]// 00000002DA10: D3F300C0 0F03396C
	v_mfma_f32_16x16x32_fp8_fp8 v[192:195], a[110:111], v[158:159], v[192:195]// 00000002DA18: D3F300C0 0F033D6E
	v_mfma_f32_16x16x32_fp8_fp8 v[196:199], a[112:113], v[144:145], 0// 00000002DA20: D3F300C4 0A032170
	v_mfma_f32_16x16x32_fp8_fp8 v[196:199], a[114:115], v[146:147], v[196:199]// 00000002DA28: D3F300C4 0F132572
	v_mfma_f32_16x16x32_fp8_fp8 v[196:199], a[116:117], v[148:149], v[196:199]// 00000002DA30: D3F300C4 0F132974
	v_mfma_f32_16x16x32_fp8_fp8 v[196:199], a[118:119], v[150:151], v[196:199]// 00000002DA38: D3F300C4 0F132D76
	v_mfma_f32_16x16x32_fp8_fp8 v[196:199], a[120:121], v[152:153], v[196:199]// 00000002DA40: D3F300C4 0F133178
	v_mfma_f32_16x16x32_fp8_fp8 v[196:199], a[122:123], v[154:155], v[196:199]// 00000002DA48: D3F300C4 0F13357A
	v_mfma_f32_16x16x32_fp8_fp8 v[196:199], a[124:125], v[156:157], v[196:199]// 00000002DA50: D3F300C4 0F13397C
	v_mfma_f32_16x16x32_fp8_fp8 v[196:199], a[126:127], v[158:159], v[196:199]// 00000002DA58: D3F300C4 0F133D7E
	v_mfma_f32_16x16x32_fp8_fp8 v[200:203], a[96:97], v[160:161], 0// 00000002DA60: D3F300C8 0A034160
	v_mfma_f32_16x16x32_fp8_fp8 v[200:203], a[98:99], v[162:163], v[200:203]// 00000002DA68: D3F300C8 0F234562
	v_mfma_f32_16x16x32_fp8_fp8 v[200:203], a[100:101], v[164:165], v[200:203]// 00000002DA70: D3F300C8 0F234964
	v_mfma_f32_16x16x32_fp8_fp8 v[200:203], a[102:103], v[166:167], v[200:203]// 00000002DA78: D3F300C8 0F234D66
	v_mfma_f32_16x16x32_fp8_fp8 v[200:203], a[104:105], v[168:169], v[200:203]// 00000002DA80: D3F300C8 0F235168
	v_mfma_f32_16x16x32_fp8_fp8 v[200:203], a[106:107], v[170:171], v[200:203]// 00000002DA88: D3F300C8 0F23556A
	v_mfma_f32_16x16x32_fp8_fp8 v[200:203], a[108:109], v[172:173], v[200:203]// 00000002DA90: D3F300C8 0F23596C
	v_mfma_f32_16x16x32_fp8_fp8 v[200:203], a[110:111], v[174:175], v[200:203]// 00000002DA98: D3F300C8 0F235D6E
	v_mfma_f32_16x16x32_fp8_fp8 v[204:207], a[112:113], v[160:161], 0// 00000002DAA0: D3F300CC 0A034170
	v_mfma_f32_16x16x32_fp8_fp8 v[204:207], a[114:115], v[162:163], v[204:207]// 00000002DAA8: D3F300CC 0F334572
	v_mfma_f32_16x16x32_fp8_fp8 v[204:207], a[116:117], v[164:165], v[204:207]// 00000002DAB0: D3F300CC 0F334974
	v_mfma_f32_16x16x32_fp8_fp8 v[204:207], a[118:119], v[166:167], v[204:207]// 00000002DAB8: D3F300CC 0F334D76
	v_mfma_f32_16x16x32_fp8_fp8 v[204:207], a[120:121], v[168:169], v[204:207]// 00000002DAC0: D3F300CC 0F335178
	v_mfma_f32_16x16x32_fp8_fp8 v[204:207], a[122:123], v[170:171], v[204:207]// 00000002DAC8: D3F300CC 0F33557A
	v_mfma_f32_16x16x32_fp8_fp8 v[204:207], a[124:125], v[172:173], v[204:207]// 00000002DAD0: D3F300CC 0F33597C
	v_mfma_f32_16x16x32_fp8_fp8 v[204:207], a[126:127], v[174:175], v[204:207]// 00000002DAD8: D3F300CC 0F335D7E
	s_nop 4                                                    // 00000002DAE0: BF800004
	s_branch label_AE3A                                        // 00000002DAE4: BF820000

000000000002dae8 <label_AE3A>:
	v_mul_f32_e32 v208, v49, v208                              // 00000002DAE8: 0BA1A131
	v_mul_f32_e32 v209, v49, v209                              // 00000002DAEC: 0BA3A331
	v_mul_f32_e32 v210, v49, v210                              // 00000002DAF0: 0BA5A531
	v_mul_f32_e32 v211, v49, v211                              // 00000002DAF4: 0BA7A731
	v_mul_f32_e32 v212, v49, v212                              // 00000002DAF8: 0BA9A931
	v_mul_f32_e32 v213, v49, v213                              // 00000002DAFC: 0BABAB31
	v_mul_f32_e32 v214, v49, v214                              // 00000002DB00: 0BADAD31
	v_mul_f32_e32 v215, v49, v215                              // 00000002DB04: 0BAFAF31
	v_mul_f32_e32 v176, v44, v176                              // 00000002DB08: 0B61612C
	v_mul_f32_e32 v177, v44, v177                              // 00000002DB0C: 0B63632C
	v_mul_f32_e32 v178, v44, v178                              // 00000002DB10: 0B65652C
	v_mul_f32_e32 v179, v44, v179                              // 00000002DB14: 0B67672C
	v_mul_f32_e32 v180, v44, v180                              // 00000002DB18: 0B69692C
	v_mul_f32_e32 v181, v44, v181                              // 00000002DB1C: 0B6B6B2C
	v_mul_f32_e32 v182, v44, v182                              // 00000002DB20: 0B6D6D2C
	v_mul_f32_e32 v183, v44, v183                              // 00000002DB24: 0B6F6F2C
	v_add_f32_e32 v208, v208, v176                             // 00000002DB28: 03A161D0
	v_add_f32_e32 v209, v209, v177                             // 00000002DB2C: 03A363D1
	v_add_f32_e32 v210, v210, v178                             // 00000002DB30: 03A565D2
	v_add_f32_e32 v211, v211, v179                             // 00000002DB34: 03A767D3
	v_add_f32_e32 v212, v212, v180                             // 00000002DB38: 03A969D4
	v_add_f32_e32 v213, v213, v181                             // 00000002DB3C: 03AB6BD5
	v_add_f32_e32 v214, v214, v182                             // 00000002DB40: 03AD6DD6
	v_add_f32_e32 v215, v215, v183                             // 00000002DB44: 03AF6FD7
	ds_write_b32 v8, v38 offset:16896                          // 00000002DB48: D81A4200 00002608
	s_waitcnt lgkmcnt(0)                                       // 00000002DB50: BF8CC07F
	s_barrier                                                  // 00000002DB54: BF8A0000
	ds_read_b32 v64, v7 offset:16896                           // 00000002DB58: D86C4200 40000007
	ds_read_b32 v65, v7 offset:16960                           // 00000002DB60: D86C4240 41000007
	ds_read_b32 v66, v7 offset:17024                           // 00000002DB68: D86C4280 42000007
	ds_read_b32 v67, v7 offset:17088                           // 00000002DB70: D86C42C0 43000007
	ds_read_b32 v68, v7 offset:17152                           // 00000002DB78: D86C4300 44000007
	ds_read_b32 v69, v7 offset:17216                           // 00000002DB80: D86C4340 45000007
	ds_read_b32 v70, v7 offset:17280                           // 00000002DB88: D86C4380 46000007
	ds_read_b32 v71, v7 offset:17344                           // 00000002DB90: D86C43C0 47000007
	ds_read_b32 v72, v7 offset:17408                           // 00000002DB98: D86C4400 48000007
	ds_read_b32 v73, v7 offset:17472                           // 00000002DBA0: D86C4440 49000007
	ds_read_b32 v74, v7 offset:17536                           // 00000002DBA8: D86C4480 4A000007
	ds_read_b32 v75, v7 offset:17600                           // 00000002DBB0: D86C44C0 4B000007
	ds_read_b32 v76, v7 offset:17664                           // 00000002DBB8: D86C4500 4C000007
	ds_read_b32 v77, v7 offset:17728                           // 00000002DBC0: D86C4540 4D000007
	ds_read_b32 v78, v7 offset:17792                           // 00000002DBC8: D86C4580 4E000007
	ds_read_b32 v79, v7 offset:17856                           // 00000002DBD0: D86C45C0 4F000007
	s_waitcnt lgkmcnt(0)                                       // 00000002DBD8: BF8CC07F
	v_mov_b32_e32 v38, 0                                       // 00000002DBDC: 7E4C0280
	v_add_f32_e32 v38, v64, v38                                // 00000002DBE0: 024C4D40
	v_add_f32_e32 v38, v65, v38                                // 00000002DBE4: 024C4D41
	v_add_f32_e32 v38, v66, v38                                // 00000002DBE8: 024C4D42
	v_add_f32_e32 v38, v67, v38                                // 00000002DBEC: 024C4D43
	v_add_f32_e32 v38, v68, v38                                // 00000002DBF0: 024C4D44
	v_add_f32_e32 v38, v69, v38                                // 00000002DBF4: 024C4D45
	v_add_f32_e32 v38, v70, v38                                // 00000002DBF8: 024C4D46
	v_add_f32_e32 v38, v71, v38                                // 00000002DBFC: 024C4D47
	v_add_f32_e32 v38, v72, v38                                // 00000002DC00: 024C4D48
	v_add_f32_e32 v38, v73, v38                                // 00000002DC04: 024C4D49
	v_add_f32_e32 v38, v74, v38                                // 00000002DC08: 024C4D4A
	v_add_f32_e32 v38, v75, v38                                // 00000002DC0C: 024C4D4B
	v_add_f32_e32 v38, v76, v38                                // 00000002DC10: 024C4D4C
	v_add_f32_e32 v38, v77, v38                                // 00000002DC14: 024C4D4D
	v_add_f32_e32 v38, v78, v38                                // 00000002DC18: 024C4D4E
	v_add_f32_e32 v38, v79, v38                                // 00000002DC1C: 024C4D4F
	s_nop 1                                                    // 00000002DC20: BF800001
	v_rcp_f32_e32 v38, v38                                     // 00000002DC24: 7E4C4526
	s_nop 1                                                    // 00000002DC28: BF800001
	v_mul_f32_e32 v208, v38, v208                              // 00000002DC2C: 0BA1A126
	v_mul_f32_e32 v209, v38, v209                              // 00000002DC30: 0BA3A326
	v_mul_f32_e32 v210, v38, v210                              // 00000002DC34: 0BA5A526
	v_mul_f32_e32 v211, v38, v211                              // 00000002DC38: 0BA7A726
	v_mul_f32_e32 v212, v38, v212                              // 00000002DC3C: 0BA9A926
	v_mul_f32_e32 v213, v38, v213                              // 00000002DC40: 0BABAB26
	v_mul_f32_e32 v214, v38, v214                              // 00000002DC44: 0BADAD26
	v_mul_f32_e32 v215, v38, v215                              // 00000002DC48: 0BAFAF26
	v_mov_b32_e32 v19, 0xffff0000                              // 00000002DC4C: 7E2602FF FFFF0000
	v_mov_b32_e32 v20, 0x7fff0000                              // 00000002DC54: 7E2802FF 7FFF0000
	v_mov_b32_e32 v21, 0x7fff                                  // 00000002DC5C: 7E2A02FF 00007FFF
	v_cmp_u_f32_e64 s[40:41], v208, v208                       // 00000002DC64: D0480028 0003A1D0
	v_add3_u32 v18, v208, v21, 1                               // 00000002DC6C: D1FF0012 02062BD0
	v_cndmask_b32_e64 v64, v18, v20, s[40:41]                  // 00000002DC74: D1000040 00A22912
	v_cmp_u_f32_e64 s[40:41], v209, v209                       // 00000002DC7C: D0480028 0003A3D1
	v_add3_u32 v18, v209, v21, 1                               // 00000002DC84: D1FF0012 02062BD1
	v_cndmask_b32_e64 v65, v18, v20, s[40:41]                  // 00000002DC8C: D1000041 00A22912
	v_perm_b32 v208, v65, v64, s52                             // 00000002DC94: D1ED00D0 00D28141
	v_cmp_u_f32_e64 s[40:41], v210, v210                       // 00000002DC9C: D0480028 0003A5D2
	v_add3_u32 v18, v210, v21, 1                               // 00000002DCA4: D1FF0012 02062BD2
	v_cndmask_b32_e64 v64, v18, v20, s[40:41]                  // 00000002DCAC: D1000040 00A22912
	v_cmp_u_f32_e64 s[40:41], v211, v211                       // 00000002DCB4: D0480028 0003A7D3
	v_add3_u32 v18, v211, v21, 1                               // 00000002DCBC: D1FF0012 02062BD3
	v_cndmask_b32_e64 v65, v18, v20, s[40:41]                  // 00000002DCC4: D1000041 00A22912
	v_perm_b32 v209, v65, v64, s52                             // 00000002DCCC: D1ED00D1 00D28141
	v_cmp_u_f32_e64 s[40:41], v212, v212                       // 00000002DCD4: D0480028 0003A9D4
	v_add3_u32 v18, v212, v21, 1                               // 00000002DCDC: D1FF0012 02062BD4
	v_cndmask_b32_e64 v64, v18, v20, s[40:41]                  // 00000002DCE4: D1000040 00A22912
	v_cmp_u_f32_e64 s[40:41], v213, v213                       // 00000002DCEC: D0480028 0003ABD5
	v_add3_u32 v18, v213, v21, 1                               // 00000002DCF4: D1FF0012 02062BD5
	v_cndmask_b32_e64 v65, v18, v20, s[40:41]                  // 00000002DCFC: D1000041 00A22912
	v_perm_b32 v210, v65, v64, s52                             // 00000002DD04: D1ED00D2 00D28141
	v_cmp_u_f32_e64 s[40:41], v214, v214                       // 00000002DD0C: D0480028 0003ADD6
	v_add3_u32 v18, v214, v21, 1                               // 00000002DD14: D1FF0012 02062BD6
	v_cndmask_b32_e64 v64, v18, v20, s[40:41]                  // 00000002DD1C: D1000040 00A22912
	v_cmp_u_f32_e64 s[40:41], v215, v215                       // 00000002DD24: D0480028 0003AFD7
	v_add3_u32 v18, v215, v21, 1                               // 00000002DD2C: D1FF0012 02062BD7
	v_cndmask_b32_e64 v65, v18, v20, s[40:41]                  // 00000002DD34: D1000041 00A22912
	v_perm_b32 v211, v65, v64, s52                             // 00000002DD3C: D1ED00D3 00D28141
	s_nop 1                                                    // 00000002DD44: BF800001
	v_lshrrev_b32_e32 v64, 4, v0                               // 00000002DD48: 20800084
	v_mul_i32_i24_e32 v68, 34, v64                             // 00000002DD4C: 0C8880A2
	v_and_b32_e32 v64, 15, v0                                  // 00000002DD50: 2680008F
	v_mul_i32_i24_e32 v65, 2, v64                              // 00000002DD54: 0C828082
	v_add_u32_e32 v68, v65, v68                                // 00000002DD58: 68888941
	s_mul_i32 s60, s7, 0x88                                    // 00000002DD5C: 923CFF07 00000088
	v_add_u32_e32 v68, s60, v68                                // 00000002DD64: 6888883C
	v_lshlrev_b32_e32 v68, 2, v68                              // 00000002DD68: 24888882
	ds_write_b64 v68, v[208:209] offset:41472                  // 00000002DD6C: D89AA200 0000D044
	ds_write_b64 v68, v[210:211] offset:43648                  // 00000002DD74: D89AAA80 0000D244
	v_lshrrev_b32_e32 v64, 1, v0                               // 00000002DD7C: 20800081
	v_mul_i32_i24_e32 v68, 34, v64                             // 00000002DD80: 0C8880A2
	v_and_b32_e32 v65, 1, v0                                   // 00000002DD84: 26820081
	v_add_u32_e32 v68, v65, v68                                // 00000002DD88: 68888941
	s_mul_i32 s60, s7, 2                                       // 00000002DD8C: 923C8207
	v_add_u32_e32 v68, s60, v68                                // 00000002DD90: 6888883C
	v_lshlrev_b32_e32 v68, 2, v68                              // 00000002DD94: 24888882
	s_waitcnt lgkmcnt(0)                                       // 00000002DD98: BF8CC07F
	s_barrier                                                  // 00000002DD9C: BF8A0000
	ds_read_b32 v208, v68 offset:41472                         // 00000002DDA0: D86CA200 D0000044
	ds_read_b32 v209, v68 offset:41504                         // 00000002DDA8: D86CA220 D1000044
	ds_read_b32 v210, v68 offset:41536                         // 00000002DDB0: D86CA240 D2000044
	ds_read_b32 v211, v68 offset:41568                         // 00000002DDB8: D86CA260 D3000044
	s_mul_i32 s60, s7, 0x100                                   // 00000002DDC0: 923CFF07 00000100
	v_lshlrev_b32_e32 v64, 2, v0                               // 00000002DDC8: 24800082
	v_add_u32_e64 v64, v64, s60                                // 00000002DDCC: D1340040 00007940
	s_waitcnt lgkmcnt(0)                                       // 00000002DDD4: BF8CC07F
	buffer_store_dword v208, v64, s[8:11], 0 offen             // 00000002DDD8: E0701000 8002D040
	buffer_store_dword v209, v64, s[8:11], 0 offen offset:1024 // 00000002DDE0: E0701400 8002D140
	buffer_store_dword v210, v64, s[8:11], 0 offen offset:2048 // 00000002DDE8: E0701800 8002D240
	buffer_store_dword v211, v64, s[8:11], 0 offen offset:3072 // 00000002DDF0: E0701C00 8002D340
	s_add_u32 s8, s75, s8                                      // 00000002DDF8: 8008084B
	s_addc_u32 s9, 0, s9                                       // 00000002DDFC: 82090980
	v_mul_f32_e32 v216, v50, v216                              // 00000002DE00: 0BB1B132
	v_mul_f32_e32 v217, v50, v217                              // 00000002DE04: 0BB3B332
	v_mul_f32_e32 v218, v50, v218                              // 00000002DE08: 0BB5B532
	v_mul_f32_e32 v219, v50, v219                              // 00000002DE0C: 0BB7B732
	v_mul_f32_e32 v220, v50, v220                              // 00000002DE10: 0BB9B932
	v_mul_f32_e32 v221, v50, v221                              // 00000002DE14: 0BBBBB32
	v_mul_f32_e32 v222, v50, v222                              // 00000002DE18: 0BBDBD32
	v_mul_f32_e32 v223, v50, v223                              // 00000002DE1C: 0BBFBF32
	v_mul_f32_e32 v184, v45, v184                              // 00000002DE20: 0B71712D
	v_mul_f32_e32 v185, v45, v185                              // 00000002DE24: 0B73732D
	v_mul_f32_e32 v186, v45, v186                              // 00000002DE28: 0B75752D
	v_mul_f32_e32 v187, v45, v187                              // 00000002DE2C: 0B77772D
	v_mul_f32_e32 v188, v45, v188                              // 00000002DE30: 0B79792D
	v_mul_f32_e32 v189, v45, v189                              // 00000002DE34: 0B7B7B2D
	v_mul_f32_e32 v190, v45, v190                              // 00000002DE38: 0B7D7D2D
	v_mul_f32_e32 v191, v45, v191                              // 00000002DE3C: 0B7F7F2D
	v_add_f32_e32 v216, v216, v184                             // 00000002DE40: 03B171D8
	v_add_f32_e32 v217, v217, v185                             // 00000002DE44: 03B373D9
	v_add_f32_e32 v218, v218, v186                             // 00000002DE48: 03B575DA
	v_add_f32_e32 v219, v219, v187                             // 00000002DE4C: 03B777DB
	v_add_f32_e32 v220, v220, v188                             // 00000002DE50: 03B979DC
	v_add_f32_e32 v221, v221, v189                             // 00000002DE54: 03BB7BDD
	v_add_f32_e32 v222, v222, v190                             // 00000002DE58: 03BD7DDE
	v_add_f32_e32 v223, v223, v191                             // 00000002DE5C: 03BF7FDF
	ds_write_b32 v8, v39 offset:16896                          // 00000002DE60: D81A4200 00002708
	s_waitcnt lgkmcnt(0)                                       // 00000002DE68: BF8CC07F
	s_barrier                                                  // 00000002DE6C: BF8A0000
	ds_read_b32 v64, v7 offset:16896                           // 00000002DE70: D86C4200 40000007
	ds_read_b32 v65, v7 offset:16960                           // 00000002DE78: D86C4240 41000007
	ds_read_b32 v66, v7 offset:17024                           // 00000002DE80: D86C4280 42000007
	ds_read_b32 v67, v7 offset:17088                           // 00000002DE88: D86C42C0 43000007
	ds_read_b32 v68, v7 offset:17152                           // 00000002DE90: D86C4300 44000007
	ds_read_b32 v69, v7 offset:17216                           // 00000002DE98: D86C4340 45000007
	ds_read_b32 v70, v7 offset:17280                           // 00000002DEA0: D86C4380 46000007
	ds_read_b32 v71, v7 offset:17344                           // 00000002DEA8: D86C43C0 47000007
	ds_read_b32 v72, v7 offset:17408                           // 00000002DEB0: D86C4400 48000007
	ds_read_b32 v73, v7 offset:17472                           // 00000002DEB8: D86C4440 49000007
	ds_read_b32 v74, v7 offset:17536                           // 00000002DEC0: D86C4480 4A000007
	ds_read_b32 v75, v7 offset:17600                           // 00000002DEC8: D86C44C0 4B000007
	ds_read_b32 v76, v7 offset:17664                           // 00000002DED0: D86C4500 4C000007
	ds_read_b32 v77, v7 offset:17728                           // 00000002DED8: D86C4540 4D000007
	ds_read_b32 v78, v7 offset:17792                           // 00000002DEE0: D86C4580 4E000007
	ds_read_b32 v79, v7 offset:17856                           // 00000002DEE8: D86C45C0 4F000007
	s_waitcnt lgkmcnt(0)                                       // 00000002DEF0: BF8CC07F
	v_mov_b32_e32 v39, 0                                       // 00000002DEF4: 7E4E0280
	v_add_f32_e32 v39, v64, v39                                // 00000002DEF8: 024E4F40
	v_add_f32_e32 v39, v65, v39                                // 00000002DEFC: 024E4F41
	v_add_f32_e32 v39, v66, v39                                // 00000002DF00: 024E4F42
	v_add_f32_e32 v39, v67, v39                                // 00000002DF04: 024E4F43
	v_add_f32_e32 v39, v68, v39                                // 00000002DF08: 024E4F44
	v_add_f32_e32 v39, v69, v39                                // 00000002DF0C: 024E4F45
	v_add_f32_e32 v39, v70, v39                                // 00000002DF10: 024E4F46
	v_add_f32_e32 v39, v71, v39                                // 00000002DF14: 024E4F47
	v_add_f32_e32 v39, v72, v39                                // 00000002DF18: 024E4F48
	v_add_f32_e32 v39, v73, v39                                // 00000002DF1C: 024E4F49
	v_add_f32_e32 v39, v74, v39                                // 00000002DF20: 024E4F4A
	v_add_f32_e32 v39, v75, v39                                // 00000002DF24: 024E4F4B
	v_add_f32_e32 v39, v76, v39                                // 00000002DF28: 024E4F4C
	v_add_f32_e32 v39, v77, v39                                // 00000002DF2C: 024E4F4D
	v_add_f32_e32 v39, v78, v39                                // 00000002DF30: 024E4F4E
	v_add_f32_e32 v39, v79, v39                                // 00000002DF34: 024E4F4F
	s_nop 1                                                    // 00000002DF38: BF800001
	v_rcp_f32_e32 v39, v39                                     // 00000002DF3C: 7E4E4527
	s_nop 1                                                    // 00000002DF40: BF800001
	v_mul_f32_e32 v216, v39, v216                              // 00000002DF44: 0BB1B127
	v_mul_f32_e32 v217, v39, v217                              // 00000002DF48: 0BB3B327
	v_mul_f32_e32 v218, v39, v218                              // 00000002DF4C: 0BB5B527
	v_mul_f32_e32 v219, v39, v219                              // 00000002DF50: 0BB7B727
	v_mul_f32_e32 v220, v39, v220                              // 00000002DF54: 0BB9B927
	v_mul_f32_e32 v221, v39, v221                              // 00000002DF58: 0BBBBB27
	v_mul_f32_e32 v222, v39, v222                              // 00000002DF5C: 0BBDBD27
	v_mul_f32_e32 v223, v39, v223                              // 00000002DF60: 0BBFBF27
	v_mov_b32_e32 v19, 0xffff0000                              // 00000002DF64: 7E2602FF FFFF0000
	v_mov_b32_e32 v20, 0x7fff0000                              // 00000002DF6C: 7E2802FF 7FFF0000
	v_mov_b32_e32 v21, 0x7fff                                  // 00000002DF74: 7E2A02FF 00007FFF
	v_cmp_u_f32_e64 s[40:41], v216, v216                       // 00000002DF7C: D0480028 0003B1D8
	v_add3_u32 v18, v216, v21, 1                               // 00000002DF84: D1FF0012 02062BD8
	v_cndmask_b32_e64 v64, v18, v20, s[40:41]                  // 00000002DF8C: D1000040 00A22912
	v_cmp_u_f32_e64 s[40:41], v217, v217                       // 00000002DF94: D0480028 0003B3D9
	v_add3_u32 v18, v217, v21, 1                               // 00000002DF9C: D1FF0012 02062BD9
	v_cndmask_b32_e64 v65, v18, v20, s[40:41]                  // 00000002DFA4: D1000041 00A22912
	v_perm_b32 v216, v65, v64, s52                             // 00000002DFAC: D1ED00D8 00D28141
	v_cmp_u_f32_e64 s[40:41], v218, v218                       // 00000002DFB4: D0480028 0003B5DA
	v_add3_u32 v18, v218, v21, 1                               // 00000002DFBC: D1FF0012 02062BDA
	v_cndmask_b32_e64 v64, v18, v20, s[40:41]                  // 00000002DFC4: D1000040 00A22912
	v_cmp_u_f32_e64 s[40:41], v219, v219                       // 00000002DFCC: D0480028 0003B7DB
	v_add3_u32 v18, v219, v21, 1                               // 00000002DFD4: D1FF0012 02062BDB
	v_cndmask_b32_e64 v65, v18, v20, s[40:41]                  // 00000002DFDC: D1000041 00A22912
	v_perm_b32 v217, v65, v64, s52                             // 00000002DFE4: D1ED00D9 00D28141
	v_cmp_u_f32_e64 s[40:41], v220, v220                       // 00000002DFEC: D0480028 0003B9DC
	v_add3_u32 v18, v220, v21, 1                               // 00000002DFF4: D1FF0012 02062BDC
	v_cndmask_b32_e64 v64, v18, v20, s[40:41]                  // 00000002DFFC: D1000040 00A22912
	v_cmp_u_f32_e64 s[40:41], v221, v221                       // 00000002E004: D0480028 0003BBDD
	v_add3_u32 v18, v221, v21, 1                               // 00000002E00C: D1FF0012 02062BDD
	v_cndmask_b32_e64 v65, v18, v20, s[40:41]                  // 00000002E014: D1000041 00A22912
	v_perm_b32 v218, v65, v64, s52                             // 00000002E01C: D1ED00DA 00D28141
	v_cmp_u_f32_e64 s[40:41], v222, v222                       // 00000002E024: D0480028 0003BDDE
	v_add3_u32 v18, v222, v21, 1                               // 00000002E02C: D1FF0012 02062BDE
	v_cndmask_b32_e64 v64, v18, v20, s[40:41]                  // 00000002E034: D1000040 00A22912
	v_cmp_u_f32_e64 s[40:41], v223, v223                       // 00000002E03C: D0480028 0003BFDF
	v_add3_u32 v18, v223, v21, 1                               // 00000002E044: D1FF0012 02062BDF
	v_cndmask_b32_e64 v65, v18, v20, s[40:41]                  // 00000002E04C: D1000041 00A22912
	v_perm_b32 v219, v65, v64, s52                             // 00000002E054: D1ED00DB 00D28141
	s_nop 1                                                    // 00000002E05C: BF800001
	v_lshrrev_b32_e32 v64, 4, v0                               // 00000002E060: 20800084
	v_mul_i32_i24_e32 v68, 34, v64                             // 00000002E064: 0C8880A2
	v_and_b32_e32 v64, 15, v0                                  // 00000002E068: 2680008F
	v_mul_i32_i24_e32 v65, 2, v64                              // 00000002E06C: 0C828082
	v_add_u32_e32 v68, v65, v68                                // 00000002E070: 68888941
	s_mul_i32 s60, s7, 0x88                                    // 00000002E074: 923CFF07 00000088
	v_add_u32_e32 v68, s60, v68                                // 00000002E07C: 6888883C
	v_lshlrev_b32_e32 v68, 2, v68                              // 00000002E080: 24888882
	ds_write_b64 v68, v[216:217] offset:41472                  // 00000002E084: D89AA200 0000D844
	ds_write_b64 v68, v[218:219] offset:43648                  // 00000002E08C: D89AAA80 0000DA44
	v_lshrrev_b32_e32 v64, 1, v0                               // 00000002E094: 20800081
	v_mul_i32_i24_e32 v68, 34, v64                             // 00000002E098: 0C8880A2
	v_and_b32_e32 v65, 1, v0                                   // 00000002E09C: 26820081
	v_add_u32_e32 v68, v65, v68                                // 00000002E0A0: 68888941
	s_mul_i32 s60, s7, 2                                       // 00000002E0A4: 923C8207
	v_add_u32_e32 v68, s60, v68                                // 00000002E0A8: 6888883C
	v_lshlrev_b32_e32 v68, 2, v68                              // 00000002E0AC: 24888882
	s_waitcnt lgkmcnt(0)                                       // 00000002E0B0: BF8CC07F
	s_barrier                                                  // 00000002E0B4: BF8A0000
	ds_read_b32 v216, v68 offset:41472                         // 00000002E0B8: D86CA200 D8000044
	ds_read_b32 v217, v68 offset:41504                         // 00000002E0C0: D86CA220 D9000044
	ds_read_b32 v218, v68 offset:41536                         // 00000002E0C8: D86CA240 DA000044
	ds_read_b32 v219, v68 offset:41568                         // 00000002E0D0: D86CA260 DB000044
	s_mul_i32 s60, s7, 0x100                                   // 00000002E0D8: 923CFF07 00000100
	v_lshlrev_b32_e32 v64, 2, v0                               // 00000002E0E0: 24800082
	v_add_u32_e64 v64, v64, s60                                // 00000002E0E4: D1340040 00007940
	s_waitcnt lgkmcnt(0)                                       // 00000002E0EC: BF8CC07F
	buffer_store_dword v216, v64, s[8:11], 0 offen             // 00000002E0F0: E0701000 8002D840
	buffer_store_dword v217, v64, s[8:11], 0 offen offset:1024 // 00000002E0F8: E0701400 8002D940
	buffer_store_dword v218, v64, s[8:11], 0 offen offset:2048 // 00000002E100: E0701800 8002DA40
	buffer_store_dword v219, v64, s[8:11], 0 offen offset:3072 // 00000002E108: E0701C00 8002DB40
	s_add_u32 s8, s75, s8                                      // 00000002E110: 8008084B
	s_addc_u32 s9, 0, s9                                       // 00000002E114: 82090980
	v_mul_f32_e32 v224, v51, v224                              // 00000002E118: 0BC1C133
	v_mul_f32_e32 v225, v51, v225                              // 00000002E11C: 0BC3C333
	v_mul_f32_e32 v226, v51, v226                              // 00000002E120: 0BC5C533
	v_mul_f32_e32 v227, v51, v227                              // 00000002E124: 0BC7C733
	v_mul_f32_e32 v228, v51, v228                              // 00000002E128: 0BC9C933
	v_mul_f32_e32 v229, v51, v229                              // 00000002E12C: 0BCBCB33
	v_mul_f32_e32 v230, v51, v230                              // 00000002E130: 0BCDCD33
	v_mul_f32_e32 v231, v51, v231                              // 00000002E134: 0BCFCF33
	v_mul_f32_e32 v192, v46, v192                              // 00000002E138: 0B81812E
	v_mul_f32_e32 v193, v46, v193                              // 00000002E13C: 0B83832E
	v_mul_f32_e32 v194, v46, v194                              // 00000002E140: 0B85852E
	v_mul_f32_e32 v195, v46, v195                              // 00000002E144: 0B87872E
	v_mul_f32_e32 v196, v46, v196                              // 00000002E148: 0B89892E
	v_mul_f32_e32 v197, v46, v197                              // 00000002E14C: 0B8B8B2E
	v_mul_f32_e32 v198, v46, v198                              // 00000002E150: 0B8D8D2E
	v_mul_f32_e32 v199, v46, v199                              // 00000002E154: 0B8F8F2E
	v_add_f32_e32 v224, v224, v192                             // 00000002E158: 03C181E0
	v_add_f32_e32 v225, v225, v193                             // 00000002E15C: 03C383E1
	v_add_f32_e32 v226, v226, v194                             // 00000002E160: 03C585E2
	v_add_f32_e32 v227, v227, v195                             // 00000002E164: 03C787E3
	v_add_f32_e32 v228, v228, v196                             // 00000002E168: 03C989E4
	v_add_f32_e32 v229, v229, v197                             // 00000002E16C: 03CB8BE5
	v_add_f32_e32 v230, v230, v198                             // 00000002E170: 03CD8DE6
	v_add_f32_e32 v231, v231, v199                             // 00000002E174: 03CF8FE7
	ds_write_b32 v8, v40 offset:16896                          // 00000002E178: D81A4200 00002808
	s_waitcnt lgkmcnt(0)                                       // 00000002E180: BF8CC07F
	s_barrier                                                  // 00000002E184: BF8A0000
	ds_read_b32 v64, v7 offset:16896                           // 00000002E188: D86C4200 40000007
	ds_read_b32 v65, v7 offset:16960                           // 00000002E190: D86C4240 41000007
	ds_read_b32 v66, v7 offset:17024                           // 00000002E198: D86C4280 42000007
	ds_read_b32 v67, v7 offset:17088                           // 00000002E1A0: D86C42C0 43000007
	ds_read_b32 v68, v7 offset:17152                           // 00000002E1A8: D86C4300 44000007
	ds_read_b32 v69, v7 offset:17216                           // 00000002E1B0: D86C4340 45000007
	ds_read_b32 v70, v7 offset:17280                           // 00000002E1B8: D86C4380 46000007
	ds_read_b32 v71, v7 offset:17344                           // 00000002E1C0: D86C43C0 47000007
	ds_read_b32 v72, v7 offset:17408                           // 00000002E1C8: D86C4400 48000007
	ds_read_b32 v73, v7 offset:17472                           // 00000002E1D0: D86C4440 49000007
	ds_read_b32 v74, v7 offset:17536                           // 00000002E1D8: D86C4480 4A000007
	ds_read_b32 v75, v7 offset:17600                           // 00000002E1E0: D86C44C0 4B000007
	ds_read_b32 v76, v7 offset:17664                           // 00000002E1E8: D86C4500 4C000007
	ds_read_b32 v77, v7 offset:17728                           // 00000002E1F0: D86C4540 4D000007
	ds_read_b32 v78, v7 offset:17792                           // 00000002E1F8: D86C4580 4E000007
	ds_read_b32 v79, v7 offset:17856                           // 00000002E200: D86C45C0 4F000007
	s_waitcnt lgkmcnt(0)                                       // 00000002E208: BF8CC07F
	v_mov_b32_e32 v40, 0                                       // 00000002E20C: 7E500280
	v_add_f32_e32 v40, v64, v40                                // 00000002E210: 02505140
	v_add_f32_e32 v40, v65, v40                                // 00000002E214: 02505141
	v_add_f32_e32 v40, v66, v40                                // 00000002E218: 02505142
	v_add_f32_e32 v40, v67, v40                                // 00000002E21C: 02505143
	v_add_f32_e32 v40, v68, v40                                // 00000002E220: 02505144
	v_add_f32_e32 v40, v69, v40                                // 00000002E224: 02505145
	v_add_f32_e32 v40, v70, v40                                // 00000002E228: 02505146
	v_add_f32_e32 v40, v71, v40                                // 00000002E22C: 02505147
	v_add_f32_e32 v40, v72, v40                                // 00000002E230: 02505148
	v_add_f32_e32 v40, v73, v40                                // 00000002E234: 02505149
	v_add_f32_e32 v40, v74, v40                                // 00000002E238: 0250514A
	v_add_f32_e32 v40, v75, v40                                // 00000002E23C: 0250514B
	v_add_f32_e32 v40, v76, v40                                // 00000002E240: 0250514C
	v_add_f32_e32 v40, v77, v40                                // 00000002E244: 0250514D
	v_add_f32_e32 v40, v78, v40                                // 00000002E248: 0250514E
	v_add_f32_e32 v40, v79, v40                                // 00000002E24C: 0250514F
	s_nop 1                                                    // 00000002E250: BF800001
	v_rcp_f32_e32 v40, v40                                     // 00000002E254: 7E504528
	s_nop 1                                                    // 00000002E258: BF800001
	v_mul_f32_e32 v224, v40, v224                              // 00000002E25C: 0BC1C128
	v_mul_f32_e32 v225, v40, v225                              // 00000002E260: 0BC3C328
	v_mul_f32_e32 v226, v40, v226                              // 00000002E264: 0BC5C528
	v_mul_f32_e32 v227, v40, v227                              // 00000002E268: 0BC7C728
	v_mul_f32_e32 v228, v40, v228                              // 00000002E26C: 0BC9C928
	v_mul_f32_e32 v229, v40, v229                              // 00000002E270: 0BCBCB28
	v_mul_f32_e32 v230, v40, v230                              // 00000002E274: 0BCDCD28
	v_mul_f32_e32 v231, v40, v231                              // 00000002E278: 0BCFCF28
	v_mov_b32_e32 v19, 0xffff0000                              // 00000002E27C: 7E2602FF FFFF0000
	v_mov_b32_e32 v20, 0x7fff0000                              // 00000002E284: 7E2802FF 7FFF0000
	v_mov_b32_e32 v21, 0x7fff                                  // 00000002E28C: 7E2A02FF 00007FFF
	v_cmp_u_f32_e64 s[40:41], v224, v224                       // 00000002E294: D0480028 0003C1E0
	v_add3_u32 v18, v224, v21, 1                               // 00000002E29C: D1FF0012 02062BE0
	v_cndmask_b32_e64 v64, v18, v20, s[40:41]                  // 00000002E2A4: D1000040 00A22912
	v_cmp_u_f32_e64 s[40:41], v225, v225                       // 00000002E2AC: D0480028 0003C3E1
	v_add3_u32 v18, v225, v21, 1                               // 00000002E2B4: D1FF0012 02062BE1
	v_cndmask_b32_e64 v65, v18, v20, s[40:41]                  // 00000002E2BC: D1000041 00A22912
	v_perm_b32 v224, v65, v64, s52                             // 00000002E2C4: D1ED00E0 00D28141
	v_cmp_u_f32_e64 s[40:41], v226, v226                       // 00000002E2CC: D0480028 0003C5E2
	v_add3_u32 v18, v226, v21, 1                               // 00000002E2D4: D1FF0012 02062BE2
	v_cndmask_b32_e64 v64, v18, v20, s[40:41]                  // 00000002E2DC: D1000040 00A22912
	v_cmp_u_f32_e64 s[40:41], v227, v227                       // 00000002E2E4: D0480028 0003C7E3
	v_add3_u32 v18, v227, v21, 1                               // 00000002E2EC: D1FF0012 02062BE3
	v_cndmask_b32_e64 v65, v18, v20, s[40:41]                  // 00000002E2F4: D1000041 00A22912
	v_perm_b32 v225, v65, v64, s52                             // 00000002E2FC: D1ED00E1 00D28141
	v_cmp_u_f32_e64 s[40:41], v228, v228                       // 00000002E304: D0480028 0003C9E4
	v_add3_u32 v18, v228, v21, 1                               // 00000002E30C: D1FF0012 02062BE4
	v_cndmask_b32_e64 v64, v18, v20, s[40:41]                  // 00000002E314: D1000040 00A22912
	v_cmp_u_f32_e64 s[40:41], v229, v229                       // 00000002E31C: D0480028 0003CBE5
	v_add3_u32 v18, v229, v21, 1                               // 00000002E324: D1FF0012 02062BE5
	v_cndmask_b32_e64 v65, v18, v20, s[40:41]                  // 00000002E32C: D1000041 00A22912
	v_perm_b32 v226, v65, v64, s52                             // 00000002E334: D1ED00E2 00D28141
	v_cmp_u_f32_e64 s[40:41], v230, v230                       // 00000002E33C: D0480028 0003CDE6
	v_add3_u32 v18, v230, v21, 1                               // 00000002E344: D1FF0012 02062BE6
	v_cndmask_b32_e64 v64, v18, v20, s[40:41]                  // 00000002E34C: D1000040 00A22912
	v_cmp_u_f32_e64 s[40:41], v231, v231                       // 00000002E354: D0480028 0003CFE7
	v_add3_u32 v18, v231, v21, 1                               // 00000002E35C: D1FF0012 02062BE7
	v_cndmask_b32_e64 v65, v18, v20, s[40:41]                  // 00000002E364: D1000041 00A22912
	v_perm_b32 v227, v65, v64, s52                             // 00000002E36C: D1ED00E3 00D28141
	s_nop 1                                                    // 00000002E374: BF800001
	v_lshrrev_b32_e32 v64, 4, v0                               // 00000002E378: 20800084
	v_mul_i32_i24_e32 v68, 34, v64                             // 00000002E37C: 0C8880A2
	v_and_b32_e32 v64, 15, v0                                  // 00000002E380: 2680008F
	v_mul_i32_i24_e32 v65, 2, v64                              // 00000002E384: 0C828082
	v_add_u32_e32 v68, v65, v68                                // 00000002E388: 68888941
	s_mul_i32 s60, s7, 0x88                                    // 00000002E38C: 923CFF07 00000088
	v_add_u32_e32 v68, s60, v68                                // 00000002E394: 6888883C
	v_lshlrev_b32_e32 v68, 2, v68                              // 00000002E398: 24888882
	ds_write_b64 v68, v[224:225] offset:41472                  // 00000002E39C: D89AA200 0000E044
	ds_write_b64 v68, v[226:227] offset:43648                  // 00000002E3A4: D89AAA80 0000E244
	v_lshrrev_b32_e32 v64, 1, v0                               // 00000002E3AC: 20800081
	v_mul_i32_i24_e32 v68, 34, v64                             // 00000002E3B0: 0C8880A2
	v_and_b32_e32 v65, 1, v0                                   // 00000002E3B4: 26820081
	v_add_u32_e32 v68, v65, v68                                // 00000002E3B8: 68888941
	s_mul_i32 s60, s7, 2                                       // 00000002E3BC: 923C8207
	v_add_u32_e32 v68, s60, v68                                // 00000002E3C0: 6888883C
	v_lshlrev_b32_e32 v68, 2, v68                              // 00000002E3C4: 24888882
	s_waitcnt lgkmcnt(0)                                       // 00000002E3C8: BF8CC07F
	s_barrier                                                  // 00000002E3CC: BF8A0000
	ds_read_b32 v224, v68 offset:41472                         // 00000002E3D0: D86CA200 E0000044
	ds_read_b32 v225, v68 offset:41504                         // 00000002E3D8: D86CA220 E1000044
	ds_read_b32 v226, v68 offset:41536                         // 00000002E3E0: D86CA240 E2000044
	ds_read_b32 v227, v68 offset:41568                         // 00000002E3E8: D86CA260 E3000044
	s_mul_i32 s60, s7, 0x100                                   // 00000002E3F0: 923CFF07 00000100
	v_lshlrev_b32_e32 v64, 2, v0                               // 00000002E3F8: 24800082
	v_add_u32_e64 v64, v64, s60                                // 00000002E3FC: D1340040 00007940
	s_waitcnt lgkmcnt(0)                                       // 00000002E404: BF8CC07F
	buffer_store_dword v224, v64, s[8:11], 0 offen             // 00000002E408: E0701000 8002E040
	buffer_store_dword v225, v64, s[8:11], 0 offen offset:1024 // 00000002E410: E0701400 8002E140
	buffer_store_dword v226, v64, s[8:11], 0 offen offset:2048 // 00000002E418: E0701800 8002E240
	buffer_store_dword v227, v64, s[8:11], 0 offen offset:3072 // 00000002E420: E0701C00 8002E340
	s_add_u32 s8, s75, s8                                      // 00000002E428: 8008084B
	s_addc_u32 s9, 0, s9                                       // 00000002E42C: 82090980
	v_mul_f32_e32 v232, v52, v232                              // 00000002E430: 0BD1D134
	v_mul_f32_e32 v233, v52, v233                              // 00000002E434: 0BD3D334
	v_mul_f32_e32 v234, v52, v234                              // 00000002E438: 0BD5D534
	v_mul_f32_e32 v235, v52, v235                              // 00000002E43C: 0BD7D734
	v_mul_f32_e32 v236, v52, v236                              // 00000002E440: 0BD9D934
	v_mul_f32_e32 v237, v52, v237                              // 00000002E444: 0BDBDB34
	v_mul_f32_e32 v238, v52, v238                              // 00000002E448: 0BDDDD34
	v_mul_f32_e32 v239, v52, v239                              // 00000002E44C: 0BDFDF34
	v_mul_f32_e32 v200, v47, v200                              // 00000002E450: 0B91912F
	v_mul_f32_e32 v201, v47, v201                              // 00000002E454: 0B93932F
	v_mul_f32_e32 v202, v47, v202                              // 00000002E458: 0B95952F
	v_mul_f32_e32 v203, v47, v203                              // 00000002E45C: 0B97972F
	v_mul_f32_e32 v204, v47, v204                              // 00000002E460: 0B99992F
	v_mul_f32_e32 v205, v47, v205                              // 00000002E464: 0B9B9B2F
	v_mul_f32_e32 v206, v47, v206                              // 00000002E468: 0B9D9D2F
	v_mul_f32_e32 v207, v47, v207                              // 00000002E46C: 0B9F9F2F
	v_add_f32_e32 v232, v232, v200                             // 00000002E470: 03D191E8
	v_add_f32_e32 v233, v233, v201                             // 00000002E474: 03D393E9
	v_add_f32_e32 v234, v234, v202                             // 00000002E478: 03D595EA
	v_add_f32_e32 v235, v235, v203                             // 00000002E47C: 03D797EB
	v_add_f32_e32 v236, v236, v204                             // 00000002E480: 03D999EC
	v_add_f32_e32 v237, v237, v205                             // 00000002E484: 03DB9BED
	v_add_f32_e32 v238, v238, v206                             // 00000002E488: 03DD9DEE
	v_add_f32_e32 v239, v239, v207                             // 00000002E48C: 03DF9FEF
	ds_write_b32 v8, v41 offset:16896                          // 00000002E490: D81A4200 00002908
	s_waitcnt lgkmcnt(0)                                       // 00000002E498: BF8CC07F
	s_barrier                                                  // 00000002E49C: BF8A0000
	ds_read_b32 v64, v7 offset:16896                           // 00000002E4A0: D86C4200 40000007
	ds_read_b32 v65, v7 offset:16960                           // 00000002E4A8: D86C4240 41000007
	ds_read_b32 v66, v7 offset:17024                           // 00000002E4B0: D86C4280 42000007
	ds_read_b32 v67, v7 offset:17088                           // 00000002E4B8: D86C42C0 43000007
	ds_read_b32 v68, v7 offset:17152                           // 00000002E4C0: D86C4300 44000007
	ds_read_b32 v69, v7 offset:17216                           // 00000002E4C8: D86C4340 45000007
	ds_read_b32 v70, v7 offset:17280                           // 00000002E4D0: D86C4380 46000007
	ds_read_b32 v71, v7 offset:17344                           // 00000002E4D8: D86C43C0 47000007
	ds_read_b32 v72, v7 offset:17408                           // 00000002E4E0: D86C4400 48000007
	ds_read_b32 v73, v7 offset:17472                           // 00000002E4E8: D86C4440 49000007
	ds_read_b32 v74, v7 offset:17536                           // 00000002E4F0: D86C4480 4A000007
	ds_read_b32 v75, v7 offset:17600                           // 00000002E4F8: D86C44C0 4B000007
	ds_read_b32 v76, v7 offset:17664                           // 00000002E500: D86C4500 4C000007
	ds_read_b32 v77, v7 offset:17728                           // 00000002E508: D86C4540 4D000007
	ds_read_b32 v78, v7 offset:17792                           // 00000002E510: D86C4580 4E000007
	ds_read_b32 v79, v7 offset:17856                           // 00000002E518: D86C45C0 4F000007
	s_waitcnt lgkmcnt(0)                                       // 00000002E520: BF8CC07F
	v_mov_b32_e32 v41, 0                                       // 00000002E524: 7E520280
	v_add_f32_e32 v41, v64, v41                                // 00000002E528: 02525340
	v_add_f32_e32 v41, v65, v41                                // 00000002E52C: 02525341
	v_add_f32_e32 v41, v66, v41                                // 00000002E530: 02525342
	v_add_f32_e32 v41, v67, v41                                // 00000002E534: 02525343
	v_add_f32_e32 v41, v68, v41                                // 00000002E538: 02525344
	v_add_f32_e32 v41, v69, v41                                // 00000002E53C: 02525345
	v_add_f32_e32 v41, v70, v41                                // 00000002E540: 02525346
	v_add_f32_e32 v41, v71, v41                                // 00000002E544: 02525347
	v_add_f32_e32 v41, v72, v41                                // 00000002E548: 02525348
	v_add_f32_e32 v41, v73, v41                                // 00000002E54C: 02525349
	v_add_f32_e32 v41, v74, v41                                // 00000002E550: 0252534A
	v_add_f32_e32 v41, v75, v41                                // 00000002E554: 0252534B
	v_add_f32_e32 v41, v76, v41                                // 00000002E558: 0252534C
	v_add_f32_e32 v41, v77, v41                                // 00000002E55C: 0252534D
	v_add_f32_e32 v41, v78, v41                                // 00000002E560: 0252534E
	v_add_f32_e32 v41, v79, v41                                // 00000002E564: 0252534F
	s_nop 1                                                    // 00000002E568: BF800001
	v_rcp_f32_e32 v41, v41                                     // 00000002E56C: 7E524529
	s_nop 1                                                    // 00000002E570: BF800001
	v_mul_f32_e32 v232, v41, v232                              // 00000002E574: 0BD1D129
	v_mul_f32_e32 v233, v41, v233                              // 00000002E578: 0BD3D329
	v_mul_f32_e32 v234, v41, v234                              // 00000002E57C: 0BD5D529
	v_mul_f32_e32 v235, v41, v235                              // 00000002E580: 0BD7D729
	v_mul_f32_e32 v236, v41, v236                              // 00000002E584: 0BD9D929
	v_mul_f32_e32 v237, v41, v237                              // 00000002E588: 0BDBDB29
	v_mul_f32_e32 v238, v41, v238                              // 00000002E58C: 0BDDDD29
	v_mul_f32_e32 v239, v41, v239                              // 00000002E590: 0BDFDF29
	v_mov_b32_e32 v19, 0xffff0000                              // 00000002E594: 7E2602FF FFFF0000
	v_mov_b32_e32 v20, 0x7fff0000                              // 00000002E59C: 7E2802FF 7FFF0000
	v_mov_b32_e32 v21, 0x7fff                                  // 00000002E5A4: 7E2A02FF 00007FFF
	v_cmp_u_f32_e64 s[40:41], v232, v232                       // 00000002E5AC: D0480028 0003D1E8
	v_add3_u32 v18, v232, v21, 1                               // 00000002E5B4: D1FF0012 02062BE8
	v_cndmask_b32_e64 v64, v18, v20, s[40:41]                  // 00000002E5BC: D1000040 00A22912
	v_cmp_u_f32_e64 s[40:41], v233, v233                       // 00000002E5C4: D0480028 0003D3E9
	v_add3_u32 v18, v233, v21, 1                               // 00000002E5CC: D1FF0012 02062BE9
	v_cndmask_b32_e64 v65, v18, v20, s[40:41]                  // 00000002E5D4: D1000041 00A22912
	v_perm_b32 v232, v65, v64, s52                             // 00000002E5DC: D1ED00E8 00D28141
	v_cmp_u_f32_e64 s[40:41], v234, v234                       // 00000002E5E4: D0480028 0003D5EA
	v_add3_u32 v18, v234, v21, 1                               // 00000002E5EC: D1FF0012 02062BEA
	v_cndmask_b32_e64 v64, v18, v20, s[40:41]                  // 00000002E5F4: D1000040 00A22912
	v_cmp_u_f32_e64 s[40:41], v235, v235                       // 00000002E5FC: D0480028 0003D7EB
	v_add3_u32 v18, v235, v21, 1                               // 00000002E604: D1FF0012 02062BEB
	v_cndmask_b32_e64 v65, v18, v20, s[40:41]                  // 00000002E60C: D1000041 00A22912
	v_perm_b32 v233, v65, v64, s52                             // 00000002E614: D1ED00E9 00D28141
	v_cmp_u_f32_e64 s[40:41], v236, v236                       // 00000002E61C: D0480028 0003D9EC
	v_add3_u32 v18, v236, v21, 1                               // 00000002E624: D1FF0012 02062BEC
	v_cndmask_b32_e64 v64, v18, v20, s[40:41]                  // 00000002E62C: D1000040 00A22912
	v_cmp_u_f32_e64 s[40:41], v237, v237                       // 00000002E634: D0480028 0003DBED
	v_add3_u32 v18, v237, v21, 1                               // 00000002E63C: D1FF0012 02062BED
	v_cndmask_b32_e64 v65, v18, v20, s[40:41]                  // 00000002E644: D1000041 00A22912
	v_perm_b32 v234, v65, v64, s52                             // 00000002E64C: D1ED00EA 00D28141
	v_cmp_u_f32_e64 s[40:41], v238, v238                       // 00000002E654: D0480028 0003DDEE
	v_add3_u32 v18, v238, v21, 1                               // 00000002E65C: D1FF0012 02062BEE
	v_cndmask_b32_e64 v64, v18, v20, s[40:41]                  // 00000002E664: D1000040 00A22912
	v_cmp_u_f32_e64 s[40:41], v239, v239                       // 00000002E66C: D0480028 0003DFEF
	v_add3_u32 v18, v239, v21, 1                               // 00000002E674: D1FF0012 02062BEF
	v_cndmask_b32_e64 v65, v18, v20, s[40:41]                  // 00000002E67C: D1000041 00A22912
	v_perm_b32 v235, v65, v64, s52                             // 00000002E684: D1ED00EB 00D28141
	s_nop 1                                                    // 00000002E68C: BF800001
	v_lshrrev_b32_e32 v64, 4, v0                               // 00000002E690: 20800084
	v_mul_i32_i24_e32 v68, 34, v64                             // 00000002E694: 0C8880A2
	v_and_b32_e32 v64, 15, v0                                  // 00000002E698: 2680008F
	v_mul_i32_i24_e32 v65, 2, v64                              // 00000002E69C: 0C828082
	v_add_u32_e32 v68, v65, v68                                // 00000002E6A0: 68888941
	s_mul_i32 s60, s7, 0x88                                    // 00000002E6A4: 923CFF07 00000088
	v_add_u32_e32 v68, s60, v68                                // 00000002E6AC: 6888883C
	v_lshlrev_b32_e32 v68, 2, v68                              // 00000002E6B0: 24888882
	ds_write_b64 v68, v[232:233] offset:41472                  // 00000002E6B4: D89AA200 0000E844
	ds_write_b64 v68, v[234:235] offset:43648                  // 00000002E6BC: D89AAA80 0000EA44
	v_lshrrev_b32_e32 v64, 1, v0                               // 00000002E6C4: 20800081
	v_mul_i32_i24_e32 v68, 34, v64                             // 00000002E6C8: 0C8880A2
	v_and_b32_e32 v65, 1, v0                                   // 00000002E6CC: 26820081
	v_add_u32_e32 v68, v65, v68                                // 00000002E6D0: 68888941
	s_mul_i32 s60, s7, 2                                       // 00000002E6D4: 923C8207
	v_add_u32_e32 v68, s60, v68                                // 00000002E6D8: 6888883C
	v_lshlrev_b32_e32 v68, 2, v68                              // 00000002E6DC: 24888882
	s_waitcnt lgkmcnt(0)                                       // 00000002E6E0: BF8CC07F
	s_barrier                                                  // 00000002E6E4: BF8A0000
	ds_read_b32 v232, v68 offset:41472                         // 00000002E6E8: D86CA200 E8000044
	ds_read_b32 v233, v68 offset:41504                         // 00000002E6F0: D86CA220 E9000044
	ds_read_b32 v234, v68 offset:41536                         // 00000002E6F8: D86CA240 EA000044
	ds_read_b32 v235, v68 offset:41568                         // 00000002E700: D86CA260 EB000044
	s_mul_i32 s60, s7, 0x100                                   // 00000002E708: 923CFF07 00000100
	v_lshlrev_b32_e32 v64, 2, v0                               // 00000002E710: 24800082
	v_add_u32_e64 v64, v64, s60                                // 00000002E714: D1340040 00007940
	s_waitcnt lgkmcnt(0)                                       // 00000002E71C: BF8CC07F
	buffer_store_dword v232, v64, s[8:11], 0 offen             // 00000002E720: E0701000 8002E840
	buffer_store_dword v233, v64, s[8:11], 0 offen offset:1024 // 00000002E728: E0701400 8002E940
	buffer_store_dword v234, v64, s[8:11], 0 offen offset:2048 // 00000002E730: E0701800 8002EA40
	buffer_store_dword v235, v64, s[8:11], 0 offen offset:3072 // 00000002E738: E0701C00 8002EB40
	s_add_u32 s8, s75, s8                                      // 00000002E740: 8008084B
	s_addc_u32 s9, 0, s9                                       // 00000002E744: 82090980
	s_branch label_B153                                        // 00000002E748: BF820000

000000000002e74c <label_B153>:
	s_waitcnt vmcnt(0) expcnt(0) lgkmcnt(0)                    // 00000002E74C: BF8C0000
	s_endpgm                                                   // 00000002E750: BF810000
